;; amdgpu-corpus repo=ROCm/rocFFT kind=compiled arch=gfx1100 opt=O3
	.text
	.amdgcn_target "amdgcn-amd-amdhsa--gfx1100"
	.amdhsa_code_object_version 6
	.protected	bluestein_single_back_len1521_dim1_dp_op_CI_CI ; -- Begin function bluestein_single_back_len1521_dim1_dp_op_CI_CI
	.globl	bluestein_single_back_len1521_dim1_dp_op_CI_CI
	.p2align	8
	.type	bluestein_single_back_len1521_dim1_dp_op_CI_CI,@function
bluestein_single_back_len1521_dim1_dp_op_CI_CI: ; @bluestein_single_back_len1521_dim1_dp_op_CI_CI
; %bb.0:
	s_load_b128 s[16:19], s[0:1], 0x28
	v_mul_u32_u24_e32 v1, 0x231, v0
	s_mov_b32 s2, exec_lo
	v_mov_b32_e32 v7, 0
	s_delay_alu instid0(VALU_DEP_2) | instskip(NEXT) | instid1(VALU_DEP_1)
	v_lshrrev_b32_e32 v1, 16, v1
	v_add_nc_u32_e32 v6, s15, v1
	s_waitcnt lgkmcnt(0)
	s_delay_alu instid0(VALU_DEP_1)
	v_cmpx_gt_u64_e64 s[16:17], v[6:7]
	s_cbranch_execz .LBB0_18
; %bb.1:
	s_clause 0x1
	s_load_b128 s[4:7], s[0:1], 0x18
	s_load_b128 s[8:11], s[0:1], 0x0
	v_mul_lo_u16 v1, 0x75, v1
	v_mov_b32_e32 v4, v6
	s_mov_b32 s26, 0x42a4c3d2
	s_mov_b32 s24, 0x66966769
	;; [unrolled: 1-line block ×3, first 2 shown]
	v_sub_nc_u16 v24, v0, v1
	scratch_store_b64 off, v[4:5], off      ; 8-byte Folded Spill
	s_mov_b32 s20, 0x24c2f84
	s_mov_b32 s31, 0xbfddbe06
	;; [unrolled: 1-line block ×3, first 2 shown]
	v_and_b32_e32 v200, 0xffff, v24
	s_mov_b32 s27, 0xbfea55e2
	s_mov_b32 s25, 0xbfefc445
	;; [unrolled: 1-line block ×7, first 2 shown]
	s_waitcnt lgkmcnt(0)
	s_load_b128 s[12:15], s[4:5], 0x0
	s_mov_b32 s17, 0x3fbedb7d
	s_mov_b32 s37, 0x3fe5384d
	;; [unrolled: 1-line block ×7, first 2 shown]
	s_waitcnt lgkmcnt(0)
	v_mad_u64_u32 v[0:1], null, s14, v6, 0
	v_mad_u64_u32 v[2:3], null, s12, v200, 0
	s_mul_i32 s2, s13, 0x750
	s_mul_hi_u32 s4, s12, 0x750
	s_mul_i32 s3, s12, 0x750
	s_add_i32 s2, s4, s2
	s_delay_alu instid0(VALU_DEP_1) | instskip(SKIP_2) | instid1(VALU_DEP_1)
	v_mad_u64_u32 v[4:5], null, s15, v6, v[1:2]
	s_mov_b32 s14, 0x4bc48dbf
	s_mov_b32 s15, 0xbfcea1e5
	v_mov_b32_e32 v1, v4
	v_mad_u64_u32 v[5:6], null, s13, v200, v[3:4]
	v_lshlrev_b32_e32 v255, 4, v200
	s_mov_b32 s12, 0xb2365da1
	s_delay_alu instid0(VALU_DEP_3) | instskip(SKIP_1) | instid1(VALU_DEP_2)
	v_lshlrev_b64 v[0:1], 4, v[0:1]
	s_mov_b32 s13, 0xbfd6b1d8
	v_add_co_u32 v34, s4, s8, v255
	s_delay_alu instid0(VALU_DEP_4) | instskip(NEXT) | instid1(VALU_DEP_3)
	v_mov_b32_e32 v3, v5
	v_add_co_u32 v0, vcc_lo, s18, v0
	s_delay_alu instid0(VALU_DEP_4) | instskip(NEXT) | instid1(VALU_DEP_3)
	v_add_co_ci_u32_e32 v1, vcc_lo, s19, v1, vcc_lo
	v_lshlrev_b64 v[2:3], 4, v[2:3]
	v_add_co_ci_u32_e64 v35, null, s9, 0, s4
	s_mov_b32 s18, 0x1ea71119
	s_mov_b32 s19, 0x3fe22d96
	s_delay_alu instid0(VALU_DEP_2) | instskip(NEXT) | instid1(VALU_DEP_3)
	v_add_co_u32 v4, vcc_lo, v0, v2
	v_add_co_ci_u32_e32 v5, vcc_lo, v1, v3, vcc_lo
	s_delay_alu instid0(VALU_DEP_2) | instskip(NEXT) | instid1(VALU_DEP_2)
	v_add_co_u32 v8, vcc_lo, v4, s3
	v_add_co_ci_u32_e32 v9, vcc_lo, s2, v5, vcc_lo
	global_load_b128 v[0:3], v[4:5], off
	s_clause 0x1
	global_load_b128 v[29:32], v255, s[8:9]
	global_load_b128 v[25:28], v255, s[8:9] offset:1872
	global_load_b128 v[4:7], v[8:9], off
	v_add_co_u32 v12, vcc_lo, v8, s3
	v_add_co_ci_u32_e32 v13, vcc_lo, s2, v9, vcc_lo
	global_load_b128 v[36:39], v255, s[8:9] offset:3744
	global_load_b128 v[8:11], v[12:13], off
	v_add_co_u32 v22, vcc_lo, v12, s3
	v_add_co_ci_u32_e32 v23, vcc_lo, s2, v13, vcc_lo
	s_mov_b32 s8, 0xd0032e0c
	s_mov_b32 s9, 0xbfe7f3cc
	s_waitcnt vmcnt(4)
	scratch_store_b128 off, v[29:32], off offset:24 ; 16-byte Folded Spill
	s_waitcnt vmcnt(3)
	scratch_store_b128 off, v[25:28], off offset:8 ; 16-byte Folded Spill
	v_mul_f64 v[16:17], v[0:1], v[31:32]
	v_mul_f64 v[14:15], v[2:3], v[31:32]
	s_waitcnt vmcnt(2)
	v_mul_f64 v[18:19], v[6:7], v[27:28]
	v_mul_f64 v[20:21], v[4:5], v[27:28]
	s_waitcnt vmcnt(1)
	scratch_store_b128 off, v[36:39], off offset:40 ; 16-byte Folded Spill
	v_fma_f64 v[2:3], v[2:3], v[29:30], -v[16:17]
	s_waitcnt vmcnt(0)
	v_mul_f64 v[16:17], v[10:11], v[38:39]
	v_fma_f64 v[4:5], v[4:5], v[25:26], v[18:19]
	v_mul_f64 v[18:19], v[8:9], v[38:39]
	v_fma_f64 v[0:1], v[0:1], v[29:30], v[14:15]
	global_load_b128 v[12:15], v[22:23], off
	v_fma_f64 v[6:7], v[6:7], v[25:26], -v[20:21]
	v_fma_f64 v[8:9], v[8:9], v[36:37], v[16:17]
	v_add_co_u32 v16, vcc_lo, 0x1000, v34
	v_add_co_ci_u32_e32 v17, vcc_lo, 0, v35, vcc_lo
	s_clause 0x1
	global_load_b128 v[25:28], v[16:17], off offset:1520
	global_load_b128 v[29:32], v[16:17], off offset:3392
	v_fma_f64 v[10:11], v[10:11], v[36:37], -v[18:19]
	v_add_co_u32 v20, vcc_lo, v22, s3
	v_add_co_ci_u32_e32 v21, vcc_lo, s2, v23, vcc_lo
	s_waitcnt vmcnt(1)
	v_mul_f64 v[16:17], v[14:15], v[27:28]
	v_mul_f64 v[18:19], v[12:13], v[27:28]
	scratch_store_b128 off, v[25:28], off offset:56 ; 16-byte Folded Spill
	s_waitcnt vmcnt(0)
	scratch_store_b128 off, v[29:32], off offset:72 ; 16-byte Folded Spill
	v_fma_f64 v[12:13], v[12:13], v[25:26], v[16:17]
	v_fma_f64 v[14:15], v[14:15], v[25:26], -v[18:19]
	global_load_b128 v[16:19], v[20:21], off
	s_waitcnt vmcnt(0)
	v_mul_f64 v[25:26], v[16:17], v[31:32]
	v_mul_f64 v[22:23], v[18:19], v[31:32]
	s_delay_alu instid0(VALU_DEP_2)
	v_fma_f64 v[18:19], v[18:19], v[29:30], -v[25:26]
	v_add_co_u32 v25, vcc_lo, v20, s3
	v_add_co_ci_u32_e32 v26, vcc_lo, s2, v21, vcc_lo
	v_add_co_u32 v20, vcc_lo, 0x2000, v34
	v_add_co_ci_u32_e32 v21, vcc_lo, 0, v35, vcc_lo
	v_fma_f64 v[16:17], v[16:17], v[29:30], v[22:23]
	s_clause 0x1
	global_load_b128 v[36:39], v[20:21], off offset:1168
	global_load_b128 v[40:43], v[20:21], off offset:3040
	global_load_b128 v[20:23], v[25:26], off
	s_waitcnt vmcnt(2)
	scratch_store_b128 off, v[36:39], off offset:88 ; 16-byte Folded Spill
	s_waitcnt vmcnt(1)
	scratch_store_b128 off, v[40:43], off offset:104 ; 16-byte Folded Spill
	s_waitcnt vmcnt(0)
	v_mul_f64 v[29:30], v[20:21], v[38:39]
	v_mul_f64 v[27:28], v[22:23], v[38:39]
	s_delay_alu instid0(VALU_DEP_2) | instskip(SKIP_2) | instid1(VALU_DEP_4)
	v_fma_f64 v[22:23], v[22:23], v[36:37], -v[29:30]
	v_add_co_u32 v29, vcc_lo, v25, s3
	v_add_co_ci_u32_e32 v30, vcc_lo, s2, v26, vcc_lo
	v_fma_f64 v[20:21], v[20:21], v[36:37], v[27:28]
	global_load_b128 v[25:28], v[29:30], off
	s_waitcnt vmcnt(0)
	v_mul_f64 v[31:32], v[27:28], v[42:43]
	v_mul_f64 v[36:37], v[25:26], v[42:43]
	s_delay_alu instid0(VALU_DEP_2) | instskip(NEXT) | instid1(VALU_DEP_2)
	v_fma_f64 v[25:26], v[25:26], v[40:41], v[31:32]
	v_fma_f64 v[27:28], v[27:28], v[40:41], -v[36:37]
	v_add_co_u32 v40, vcc_lo, v29, s3
	v_add_co_ci_u32_e32 v41, vcc_lo, s2, v30, vcc_lo
	v_add_co_u32 v29, vcc_lo, 0x3000, v34
	v_add_co_ci_u32_e32 v30, vcc_lo, 0, v35, vcc_lo
	s_clause 0x1
	global_load_b128 v[42:45], v[29:30], off offset:816
	global_load_b128 v[46:49], v[29:30], off offset:2688
	global_load_b128 v[29:32], v[40:41], off
	s_waitcnt vmcnt(2)
	scratch_store_b128 off, v[42:45], off offset:120 ; 16-byte Folded Spill
	s_waitcnt vmcnt(1)
	scratch_store_b128 off, v[46:49], off offset:136 ; 16-byte Folded Spill
	s_waitcnt vmcnt(0)
	v_mul_f64 v[36:37], v[31:32], v[44:45]
	v_mul_f64 v[38:39], v[29:30], v[44:45]
	v_add_co_u32 v44, vcc_lo, v40, s3
	v_add_co_ci_u32_e32 v45, vcc_lo, s2, v41, vcc_lo
	s_delay_alu instid0(VALU_DEP_4) | instskip(NEXT) | instid1(VALU_DEP_4)
	v_fma_f64 v[36:37], v[29:30], v[42:43], v[36:37]
	v_fma_f64 v[38:39], v[31:32], v[42:43], -v[38:39]
	global_load_b128 v[29:32], v[44:45], off
	s_waitcnt vmcnt(0)
	v_mul_f64 v[40:41], v[31:32], v[48:49]
	v_mul_f64 v[42:43], v[29:30], v[48:49]
	v_add_co_u32 v48, vcc_lo, v44, s3
	v_add_co_ci_u32_e32 v49, vcc_lo, s2, v45, vcc_lo
	s_delay_alu instid0(VALU_DEP_4)
	v_fma_f64 v[40:41], v[29:30], v[46:47], v[40:41]
	v_add_co_u32 v29, vcc_lo, 0x4000, v34
	v_add_co_ci_u32_e32 v30, vcc_lo, 0, v35, vcc_lo
	v_fma_f64 v[42:43], v[31:32], v[46:47], -v[42:43]
	s_clause 0x1
	global_load_b128 v[50:53], v[29:30], off offset:464
	global_load_b128 v[54:57], v[29:30], off offset:2336
	global_load_b128 v[29:32], v[48:49], off
	s_waitcnt vmcnt(2)
	scratch_store_b128 off, v[50:53], off offset:152 ; 16-byte Folded Spill
	s_waitcnt vmcnt(1)
	scratch_store_b128 off, v[54:57], off offset:168 ; 16-byte Folded Spill
	s_waitcnt vmcnt(0)
	v_mul_f64 v[44:45], v[31:32], v[52:53]
	v_mul_f64 v[46:47], v[29:30], v[52:53]
	v_add_co_u32 v52, vcc_lo, v48, s3
	v_add_co_ci_u32_e32 v53, vcc_lo, s2, v49, vcc_lo
	s_delay_alu instid0(VALU_DEP_4) | instskip(NEXT) | instid1(VALU_DEP_4)
	v_fma_f64 v[44:45], v[29:30], v[50:51], v[44:45]
	v_fma_f64 v[46:47], v[31:32], v[50:51], -v[46:47]
	global_load_b128 v[29:32], v[52:53], off
	s_waitcnt vmcnt(0)
	v_mul_f64 v[48:49], v[31:32], v[56:57]
	v_mul_f64 v[50:51], v[29:30], v[56:57]
	s_delay_alu instid0(VALU_DEP_2) | instskip(SKIP_2) | instid1(VALU_DEP_4)
	v_fma_f64 v[48:49], v[29:30], v[54:55], v[48:49]
	v_add_co_u32 v29, vcc_lo, v52, s3
	v_add_co_ci_u32_e32 v30, vcc_lo, s2, v53, vcc_lo
	v_fma_f64 v[50:51], v[31:32], v[54:55], -v[50:51]
	v_add_co_u32 v31, vcc_lo, 0x5000, v34
	v_add_co_ci_u32_e32 v32, vcc_lo, 0, v35, vcc_lo
	global_load_b128 v[52:55], v[29:30], off
	global_load_b128 v[60:63], v[31:32], off offset:112
	v_add_co_u32 v29, vcc_lo, v29, s3
	v_add_co_ci_u32_e32 v30, vcc_lo, s2, v30, vcc_lo
	global_load_b128 v[64:67], v[31:32], off offset:1984
	scratch_store_b64 off, v[31:32], off offset:328 ; 8-byte Folded Spill
	s_mov_b32 s2, 0x93053d00
	s_mov_b32 s3, 0xbfef11f4
	v_cmp_gt_u16_e32 vcc_lo, 39, v24
	s_waitcnt vmcnt(1)
	v_mul_f64 v[56:57], v[54:55], v[62:63]
	v_mul_f64 v[58:59], v[52:53], v[62:63]
	scratch_store_b128 off, v[60:63], off offset:184 ; 16-byte Folded Spill
	s_waitcnt vmcnt(0)
	scratch_store_b128 off, v[64:67], off offset:200 ; 16-byte Folded Spill
	v_fma_f64 v[52:53], v[52:53], v[60:61], v[56:57]
	v_fma_f64 v[54:55], v[54:55], v[60:61], -v[58:59]
	global_load_b128 v[56:59], v[29:30], off
	s_waitcnt vmcnt(0)
	v_mul_f64 v[29:30], v[58:59], v[66:67]
	v_mul_f64 v[60:61], v[56:57], v[66:67]
	s_delay_alu instid0(VALU_DEP_2) | instskip(NEXT) | instid1(VALU_DEP_2)
	v_fma_f64 v[56:57], v[56:57], v[64:65], v[29:30]
	v_fma_f64 v[58:59], v[58:59], v[64:65], -v[60:61]
	ds_store_b128 v255, v[0:3]
	ds_store_b128 v255, v[4:7] offset:1872
	ds_store_b128 v255, v[8:11] offset:3744
	ds_store_b128 v255, v[12:15] offset:5616
	ds_store_b128 v255, v[16:19] offset:7488
	ds_store_b128 v255, v[20:23] offset:9360
	ds_store_b128 v255, v[25:28] offset:11232
	ds_store_b128 v255, v[36:39] offset:13104
	ds_store_b128 v255, v[40:43] offset:14976
	ds_store_b128 v255, v[44:47] offset:16848
	ds_store_b128 v255, v[48:51] offset:18720
	ds_store_b128 v255, v[52:55] offset:20592
	ds_store_b128 v255, v[56:59] offset:22464
	s_load_b128 s[4:7], s[6:7], 0x0
	s_waitcnt lgkmcnt(0)
	s_waitcnt_vscnt null, 0x0
	s_barrier
	buffer_gl0_inv
	ds_load_b128 v[52:55], v255
	ds_load_b128 v[56:59], v255 offset:1872
	ds_load_b128 v[60:63], v255 offset:3744
	ds_load_b128 v[64:67], v255 offset:5616
	ds_load_b128 v[68:71], v255 offset:7488
	ds_load_b128 v[72:75], v255 offset:9360
	ds_load_b128 v[4:7], v255 offset:11232
	ds_load_b128 v[8:11], v255 offset:13104
	s_waitcnt lgkmcnt(6)
	v_add_f64 v[0:1], v[52:53], v[56:57]
	v_add_f64 v[2:3], v[54:55], v[58:59]
	s_waitcnt lgkmcnt(5)
	s_delay_alu instid0(VALU_DEP_2) | instskip(NEXT) | instid1(VALU_DEP_2)
	v_add_f64 v[0:1], v[0:1], v[60:61]
	v_add_f64 v[2:3], v[2:3], v[62:63]
	s_waitcnt lgkmcnt(4)
	s_delay_alu instid0(VALU_DEP_2) | instskip(NEXT) | instid1(VALU_DEP_2)
	;; [unrolled: 4-line block ×5, first 2 shown]
	v_add_f64 v[12:13], v[0:1], v[4:5]
	v_add_f64 v[14:15], v[2:3], v[6:7]
	s_waitcnt lgkmcnt(0)
	v_add_f64 v[0:1], v[4:5], v[8:9]
	v_add_f64 v[2:3], v[6:7], v[10:11]
	v_add_f64 v[4:5], v[4:5], -v[8:9]
	v_add_f64 v[6:7], v[6:7], -v[10:11]
	v_add_f64 v[20:21], v[12:13], v[8:9]
	v_add_f64 v[22:23], v[14:15], v[10:11]
	ds_load_b128 v[12:15], v255 offset:14976
	ds_load_b128 v[25:28], v255 offset:16848
	v_mul_f64 v[146:147], v[4:5], s[20:21]
	v_mul_f64 v[144:145], v[6:7], s[20:21]
	;; [unrolled: 1-line block ×4, first 2 shown]
	s_waitcnt lgkmcnt(1)
	v_add_f64 v[8:9], v[72:73], v[12:13]
	v_add_f64 v[10:11], v[74:75], v[14:15]
	v_add_f64 v[16:17], v[72:73], -v[12:13]
	v_add_f64 v[18:19], v[74:75], -v[14:15]
	v_add_f64 v[29:30], v[20:21], v[12:13]
	v_add_f64 v[36:37], v[22:23], v[14:15]
	s_waitcnt lgkmcnt(0)
	v_add_f64 v[12:13], v[68:69], v[25:26]
	v_add_f64 v[14:15], v[70:71], v[27:28]
	v_add_f64 v[20:21], v[68:69], -v[25:26]
	v_add_f64 v[22:23], v[70:71], -v[27:28]
	v_mul_f64 v[122:123], v[16:17], s[34:35]
	v_mul_f64 v[120:121], v[18:19], s[34:35]
	;; [unrolled: 1-line block ×4, first 2 shown]
	v_add_f64 v[29:30], v[29:30], v[25:26]
	v_add_f64 v[40:41], v[36:37], v[27:28]
	ds_load_b128 v[25:28], v255 offset:18720
	ds_load_b128 v[36:39], v255 offset:20592
	v_mul_f64 v[118:119], v[20:21], s[36:37]
	v_mul_f64 v[116:117], v[22:23], s[36:37]
	;; [unrolled: 1-line block ×4, first 2 shown]
	s_waitcnt lgkmcnt(1)
	v_add_f64 v[76:77], v[64:65], v[25:26]
	v_add_f64 v[78:79], v[66:67], v[27:28]
	v_add_f64 v[80:81], v[64:65], -v[25:26]
	v_add_f64 v[82:83], v[66:67], -v[27:28]
	s_waitcnt lgkmcnt(0)
	v_add_f64 v[84:85], v[62:63], -v[38:39]
	v_add_f64 v[86:87], v[60:61], v[36:37]
	v_add_f64 v[88:89], v[62:63], v[38:39]
	;; [unrolled: 1-line block ×4, first 2 shown]
	v_add_f64 v[29:30], v[60:61], -v[36:37]
	v_mul_f64 v[114:115], v[80:81], s[14:15]
	v_mul_f64 v[112:113], v[82:83], s[14:15]
	;; [unrolled: 1-line block ×6, first 2 shown]
	s_mov_b32 s39, 0x3fea55e2
	s_mov_b32 s38, s26
	v_mul_f64 v[170:171], v[80:81], s[26:27]
	v_mul_f64 v[164:165], v[6:7], s[38:39]
	;; [unrolled: 1-line block ×3, first 2 shown]
	v_add_f64 v[36:37], v[25:26], v[36:37]
	v_add_f64 v[38:39], v[27:28], v[38:39]
	ds_load_b128 v[25:28], v255 offset:22464
	v_mul_f64 v[130:131], v[29:30], s[14:15]
	v_mul_f64 v[150:151], v[29:30], s[36:37]
	s_mov_b32 s37, 0x3fcea1e5
	s_mov_b32 s36, s14
	v_mul_f64 v[168:169], v[29:30], s[34:35]
	v_mul_f64 v[160:161], v[18:19], s[36:37]
	;; [unrolled: 1-line block ×5, first 2 shown]
	s_waitcnt lgkmcnt(0)
	s_barrier
	buffer_gl0_inv
	v_add_f64 v[40:41], v[58:59], -v[27:28]
	v_add_f64 v[42:43], v[56:57], -v[25:26]
	v_add_f64 v[44:45], v[56:57], v[25:26]
	v_add_f64 v[46:47], v[58:59], v[27:28]
	;; [unrolled: 1-line block ×4, first 2 shown]
	v_mul_f64 v[36:37], v[40:41], s[30:31]
	v_mul_f64 v[38:39], v[40:41], s[26:27]
	;; [unrolled: 1-line block ×10, first 2 shown]
	v_fma_f64 v[58:59], v[44:45], s[28:29], -v[36:37]
	v_fma_f64 v[36:37], v[44:45], s[28:29], v[36:37]
	v_fma_f64 v[60:61], v[44:45], s[18:19], -v[38:39]
	v_fma_f64 v[38:39], v[44:45], s[18:19], v[38:39]
	;; [unrolled: 2-line block ×6, first 2 shown]
	v_mul_f64 v[44:45], v[42:43], s[30:31]
	v_mul_f64 v[42:43], v[42:43], s[14:15]
	v_fma_f64 v[100:101], v[46:47], s[8:9], v[90:91]
	v_fma_f64 v[94:95], v[46:47], s[18:19], v[70:71]
	v_fma_f64 v[70:71], v[46:47], s[18:19], -v[70:71]
	v_fma_f64 v[96:97], v[46:47], s[16:17], v[72:73]
	v_fma_f64 v[72:73], v[46:47], s[16:17], -v[72:73]
	;; [unrolled: 2-line block ×3, first 2 shown]
	v_fma_f64 v[90:91], v[46:47], s[8:9], -v[90:91]
	s_mov_b32 s31, 0x3fddbe06
	s_delay_alu instid0(SALU_CYCLE_1)
	v_mul_f64 v[124:125], v[6:7], s[30:31]
	v_mul_f64 v[126:127], v[4:5], s[30:31]
	;; [unrolled: 1-line block ×8, first 2 shown]
	v_add_f64 v[104:105], v[52:53], v[58:59]
	v_add_f64 v[106:107], v[52:53], v[36:37]
	;; [unrolled: 1-line block ×3, first 2 shown]
	v_fma_f64 v[92:93], v[46:47], s[28:29], v[44:45]
	v_fma_f64 v[44:45], v[46:47], s[28:29], -v[44:45]
	v_fma_f64 v[102:103], v[46:47], s[2:3], v[42:43]
	v_fma_f64 v[42:43], v[46:47], s[2:3], -v[42:43]
	v_add_f64 v[46:47], v[52:53], v[62:63]
	v_add_f64 v[62:63], v[54:55], v[100:101]
	v_mul_f64 v[100:101], v[84:85], s[22:23]
	v_add_f64 v[110:111], v[54:55], v[70:71]
	v_add_f64 v[70:71], v[52:53], v[48:49]
	;; [unrolled: 1-line block ×9, first 2 shown]
	v_fma_f64 v[40:41], v[76:77], s[2:3], -v[112:113]
	v_add_f64 v[60:61], v[54:55], v[98:99]
	v_add_f64 v[72:73], v[54:55], v[72:73]
	;; [unrolled: 1-line block ×9, first 2 shown]
	v_mul_f64 v[102:103], v[29:30], s[22:23]
	v_fma_f64 v[38:39], v[86:87], s[12:13], -v[100:101]
	v_add_f64 v[98:99], v[54:55], v[42:43]
	v_fma_f64 v[42:43], v[88:89], s[2:3], v[130:131]
	s_delay_alu instid0(VALU_DEP_3) | instskip(SKIP_1) | instid1(VALU_DEP_3)
	v_add_f64 v[36:37], v[38:39], v[36:37]
	v_fma_f64 v[38:39], v[88:89], s[12:13], v[102:103]
	v_add_f64 v[42:43], v[42:43], v[58:59]
	v_mul_f64 v[58:59], v[84:85], s[30:31]
	s_delay_alu instid0(VALU_DEP_4) | instskip(NEXT) | instid1(VALU_DEP_4)
	v_add_f64 v[36:37], v[40:41], v[36:37]
	v_add_f64 v[38:39], v[38:39], v[44:45]
	v_fma_f64 v[40:41], v[78:79], s[2:3], v[114:115]
	v_fma_f64 v[44:45], v[76:77], s[12:13], -v[132:133]
	s_delay_alu instid0(VALU_DEP_2) | instskip(SKIP_1) | instid1(VALU_DEP_1)
	v_add_f64 v[38:39], v[40:41], v[38:39]
	v_fma_f64 v[40:41], v[12:13], s[8:9], -v[116:117]
	v_add_f64 v[36:37], v[40:41], v[36:37]
	v_fma_f64 v[40:41], v[14:15], s[8:9], v[118:119]
	s_delay_alu instid0(VALU_DEP_1) | instskip(SKIP_1) | instid1(VALU_DEP_1)
	v_add_f64 v[38:39], v[40:41], v[38:39]
	v_fma_f64 v[40:41], v[8:9], s[16:17], -v[120:121]
	v_add_f64 v[36:37], v[40:41], v[36:37]
	v_fma_f64 v[40:41], v[10:11], s[16:17], v[122:123]
	s_delay_alu instid0(VALU_DEP_1) | instskip(SKIP_1) | instid1(VALU_DEP_1)
	v_add_f64 v[38:39], v[40:41], v[38:39]
	v_fma_f64 v[40:41], v[0:1], s[28:29], -v[124:125]
	v_add_f64 v[36:37], v[40:41], v[36:37]
	v_fma_f64 v[40:41], v[2:3], s[28:29], v[126:127]
	s_delay_alu instid0(VALU_DEP_1) | instskip(SKIP_1) | instid1(VALU_DEP_1)
	v_add_f64 v[38:39], v[40:41], v[38:39]
	v_fma_f64 v[40:41], v[86:87], s[2:3], -v[128:129]
	v_add_f64 v[40:41], v[40:41], v[46:47]
	v_fma_f64 v[46:47], v[88:89], s[8:9], v[150:151]
	s_delay_alu instid0(VALU_DEP_2) | instskip(SKIP_1) | instid1(VALU_DEP_3)
	v_add_f64 v[40:41], v[44:45], v[40:41]
	v_fma_f64 v[44:45], v[78:79], s[12:13], v[134:135]
	v_add_f64 v[46:47], v[46:47], v[60:61]
	v_mul_f64 v[60:61], v[84:85], s[34:35]
	v_mul_f64 v[84:85], v[84:85], s[26:27]
	s_delay_alu instid0(VALU_DEP_4) | instskip(SKIP_1) | instid1(VALU_DEP_1)
	v_add_f64 v[42:43], v[44:45], v[42:43]
	v_fma_f64 v[44:45], v[12:13], s[28:29], -v[136:137]
	v_add_f64 v[40:41], v[44:45], v[40:41]
	v_fma_f64 v[44:45], v[14:15], s[28:29], v[138:139]
	s_delay_alu instid0(VALU_DEP_1) | instskip(SKIP_1) | instid1(VALU_DEP_1)
	v_add_f64 v[42:43], v[44:45], v[42:43]
	v_fma_f64 v[44:45], v[8:9], s[18:19], -v[140:141]
	v_add_f64 v[40:41], v[44:45], v[40:41]
	v_fma_f64 v[44:45], v[10:11], s[18:19], v[142:143]
	s_delay_alu instid0(VALU_DEP_1) | instskip(SKIP_1) | instid1(VALU_DEP_1)
	;; [unrolled: 5-line block ×3, first 2 shown]
	v_add_f64 v[42:43], v[44:45], v[42:43]
	v_fma_f64 v[44:45], v[86:87], s[8:9], -v[148:149]
	v_add_f64 v[44:45], v[44:45], v[48:49]
	v_fma_f64 v[48:49], v[76:77], s[28:29], -v[152:153]
	s_delay_alu instid0(VALU_DEP_1) | instskip(SKIP_1) | instid1(VALU_DEP_1)
	v_add_f64 v[44:45], v[48:49], v[44:45]
	v_fma_f64 v[48:49], v[78:79], s[28:29], v[154:155]
	v_add_f64 v[46:47], v[48:49], v[46:47]
	v_fma_f64 v[48:49], v[12:13], s[16:17], -v[156:157]
	s_delay_alu instid0(VALU_DEP_1) | instskip(SKIP_1) | instid1(VALU_DEP_1)
	v_add_f64 v[44:45], v[48:49], v[44:45]
	v_fma_f64 v[48:49], v[14:15], s[16:17], v[158:159]
	;; [unrolled: 5-line block ×4, first 2 shown]
	v_add_f64 v[46:47], v[48:49], v[46:47]
	v_fma_f64 v[48:49], v[86:87], s[16:17], -v[60:61]
	v_fma_f64 v[60:61], v[86:87], s[16:17], v[60:61]
	s_delay_alu instid0(VALU_DEP_2) | instskip(SKIP_1) | instid1(VALU_DEP_3)
	v_add_f64 v[48:49], v[48:49], v[50:51]
	v_fma_f64 v[50:51], v[88:89], s[16:17], v[168:169]
	v_add_f64 v[60:61], v[60:61], v[66:67]
	v_fma_f64 v[66:67], v[88:89], s[16:17], -v[168:169]
	s_delay_alu instid0(VALU_DEP_3) | instskip(SKIP_1) | instid1(VALU_DEP_3)
	v_add_f64 v[50:51], v[50:51], v[62:63]
	v_mul_f64 v[62:63], v[82:83], s[26:27]
	v_add_f64 v[66:67], v[66:67], v[90:91]
	v_fma_f64 v[90:91], v[76:77], s[2:3], v[112:113]
	s_delay_alu instid0(VALU_DEP_3) | instskip(SKIP_1) | instid1(VALU_DEP_2)
	v_fma_f64 v[52:53], v[76:77], s[18:19], -v[62:63]
	v_fma_f64 v[62:63], v[76:77], s[18:19], v[62:63]
	v_add_f64 v[48:49], v[52:53], v[48:49]
	v_fma_f64 v[52:53], v[78:79], s[18:19], v[170:171]
	s_delay_alu instid0(VALU_DEP_3) | instskip(SKIP_1) | instid1(VALU_DEP_3)
	v_add_f64 v[60:61], v[62:63], v[60:61]
	v_fma_f64 v[62:63], v[78:79], s[18:19], -v[170:171]
	v_add_f64 v[50:51], v[52:53], v[50:51]
	v_fma_f64 v[52:53], v[12:13], s[2:3], -v[172:173]
	s_delay_alu instid0(VALU_DEP_3) | instskip(SKIP_1) | instid1(VALU_DEP_3)
	v_add_f64 v[62:63], v[62:63], v[66:67]
	v_fma_f64 v[66:67], v[12:13], s[2:3], v[172:173]
	v_add_f64 v[48:49], v[52:53], v[48:49]
	v_fma_f64 v[52:53], v[14:15], s[2:3], v[174:175]
	s_delay_alu instid0(VALU_DEP_3) | instskip(SKIP_1) | instid1(VALU_DEP_3)
	v_add_f64 v[60:61], v[66:67], v[60:61]
	v_fma_f64 v[66:67], v[14:15], s[2:3], -v[174:175]
	v_add_f64 v[50:51], v[52:53], v[50:51]
	v_fma_f64 v[52:53], v[8:9], s[28:29], -v[176:177]
	s_delay_alu instid0(VALU_DEP_3) | instskip(SKIP_1) | instid1(VALU_DEP_3)
	v_add_f64 v[62:63], v[66:67], v[62:63]
	;; [unrolled: 10-line block ×3, first 2 shown]
	v_fma_f64 v[66:67], v[0:1], s[12:13], v[180:181]
	v_add_f64 v[48:49], v[52:53], v[48:49]
	v_fma_f64 v[52:53], v[2:3], s[12:13], v[182:183]
	s_delay_alu instid0(VALU_DEP_3) | instskip(SKIP_1) | instid1(VALU_DEP_3)
	v_add_f64 v[60:61], v[66:67], v[60:61]
	v_fma_f64 v[66:67], v[86:87], s[8:9], v[148:149]
                                        ; implicit-def: $vgpr148_vgpr149
	v_add_f64 v[50:51], v[52:53], v[50:51]
	v_fma_f64 v[52:53], v[86:87], s[28:29], -v[58:59]
	v_fma_f64 v[58:59], v[86:87], s[28:29], v[58:59]
	s_delay_alu instid0(VALU_DEP_4) | instskip(SKIP_1) | instid1(VALU_DEP_4)
	v_add_f64 v[64:65], v[66:67], v[64:65]
	v_fma_f64 v[66:67], v[88:89], s[8:9], -v[150:151]
	v_add_f64 v[52:53], v[52:53], v[56:57]
	v_mul_f64 v[56:57], v[29:30], s[30:31]
	v_add_f64 v[58:59], v[58:59], v[96:97]
	s_delay_alu instid0(VALU_DEP_4) | instskip(SKIP_4) | instid1(VALU_DEP_2)
	v_add_f64 v[66:67], v[66:67], v[74:75]
	v_fma_f64 v[74:75], v[2:3], s[18:19], -v[166:167]
	v_mul_f64 v[29:30], v[29:30], s[26:27]
	v_fma_f64 v[54:55], v[88:89], s[28:29], v[56:57]
	v_fma_f64 v[56:57], v[88:89], s[28:29], -v[56:57]
	v_add_f64 v[54:55], v[54:55], v[68:69]
	v_mul_f64 v[68:69], v[82:83], s[20:21]
	s_delay_alu instid0(VALU_DEP_3) | instskip(SKIP_1) | instid1(VALU_DEP_3)
	v_add_f64 v[56:57], v[56:57], v[98:99]
	v_mul_f64 v[82:83], v[82:83], s[24:25]
	v_fma_f64 v[184:185], v[76:77], s[8:9], -v[68:69]
	v_fma_f64 v[68:69], v[76:77], s[8:9], v[68:69]
	s_delay_alu instid0(VALU_DEP_2) | instskip(SKIP_1) | instid1(VALU_DEP_3)
	v_add_f64 v[52:53], v[184:185], v[52:53]
	v_mul_f64 v[184:185], v[80:81], s[20:21]
	v_add_f64 v[58:59], v[68:69], v[58:59]
	v_mul_f64 v[80:81], v[80:81], s[24:25]
	s_delay_alu instid0(VALU_DEP_3) | instskip(SKIP_1) | instid1(VALU_DEP_2)
	v_fma_f64 v[186:187], v[78:79], s[8:9], v[184:185]
	v_fma_f64 v[68:69], v[78:79], s[8:9], -v[184:185]
	v_add_f64 v[54:55], v[186:187], v[54:55]
	v_mul_f64 v[186:187], v[22:23], s[38:39]
	s_delay_alu instid0(VALU_DEP_3) | instskip(SKIP_1) | instid1(VALU_DEP_3)
	v_add_f64 v[56:57], v[68:69], v[56:57]
	v_mul_f64 v[22:23], v[22:23], s[22:23]
	v_fma_f64 v[188:189], v[12:13], s[18:19], -v[186:187]
	v_fma_f64 v[68:69], v[12:13], s[18:19], v[186:187]
	s_delay_alu instid0(VALU_DEP_2) | instskip(SKIP_1) | instid1(VALU_DEP_3)
	v_add_f64 v[52:53], v[188:189], v[52:53]
	v_mul_f64 v[188:189], v[20:21], s[38:39]
	v_add_f64 v[58:59], v[68:69], v[58:59]
	v_mul_f64 v[20:21], v[20:21], s[22:23]
	s_delay_alu instid0(VALU_DEP_3) | instskip(SKIP_1) | instid1(VALU_DEP_2)
	;; [unrolled: 15-line block ×3, first 2 shown]
	v_fma_f64 v[194:195], v[10:11], s[12:13], v[192:193]
	v_fma_f64 v[68:69], v[10:11], s[12:13], -v[192:193]
	v_add_f64 v[54:55], v[194:195], v[54:55]
	v_mul_f64 v[194:195], v[6:7], s[34:35]
	s_delay_alu instid0(VALU_DEP_3) | instskip(NEXT) | instid1(VALU_DEP_2)
	v_add_f64 v[68:69], v[68:69], v[56:57]
	v_fma_f64 v[196:197], v[0:1], s[16:17], -v[194:195]
	v_fma_f64 v[56:57], v[0:1], s[16:17], v[194:195]
	s_delay_alu instid0(VALU_DEP_2) | instskip(SKIP_1) | instid1(VALU_DEP_3)
	v_add_f64 v[52:53], v[196:197], v[52:53]
	v_mul_f64 v[196:197], v[4:5], s[34:35]
	v_add_f64 v[56:57], v[56:57], v[58:59]
	s_delay_alu instid0(VALU_DEP_2) | instskip(SKIP_1) | instid1(VALU_DEP_2)
	v_fma_f64 v[96:97], v[2:3], s[16:17], -v[196:197]
	v_fma_f64 v[198:199], v[2:3], s[16:17], v[196:197]
	v_add_f64 v[58:59], v[96:97], v[68:69]
	v_fma_f64 v[68:69], v[2:3], s[12:13], -v[182:183]
	v_mul_f64 v[96:97], v[4:5], s[14:15]
	s_delay_alu instid0(VALU_DEP_4) | instskip(NEXT) | instid1(VALU_DEP_3)
	v_add_f64 v[54:55], v[198:199], v[54:55]
	v_add_f64 v[62:63], v[68:69], v[62:63]
	v_fma_f64 v[68:69], v[76:77], s[28:29], v[152:153]
	s_delay_alu instid0(VALU_DEP_1) | instskip(SKIP_1) | instid1(VALU_DEP_1)
	v_add_f64 v[64:65], v[68:69], v[64:65]
	v_fma_f64 v[68:69], v[78:79], s[28:29], -v[154:155]
	v_add_f64 v[66:67], v[68:69], v[66:67]
	v_fma_f64 v[68:69], v[12:13], s[16:17], v[156:157]
	s_delay_alu instid0(VALU_DEP_1) | instskip(SKIP_1) | instid1(VALU_DEP_1)
	v_add_f64 v[64:65], v[68:69], v[64:65]
	v_fma_f64 v[68:69], v[14:15], s[16:17], -v[158:159]
	;; [unrolled: 5-line block ×3, first 2 shown]
	v_add_f64 v[66:67], v[68:69], v[66:67]
	v_fma_f64 v[68:69], v[0:1], s[18:19], v[164:165]
	s_delay_alu instid0(VALU_DEP_2) | instskip(NEXT) | instid1(VALU_DEP_2)
	v_add_f64 v[66:67], v[74:75], v[66:67]
	v_add_f64 v[64:65], v[68:69], v[64:65]
	v_fma_f64 v[68:69], v[86:87], s[2:3], v[128:129]
	v_fma_f64 v[74:75], v[2:3], s[8:9], -v[146:147]
	s_delay_alu instid0(VALU_DEP_2) | instskip(SKIP_1) | instid1(VALU_DEP_1)
	v_add_f64 v[68:69], v[68:69], v[70:71]
	v_fma_f64 v[70:71], v[88:89], s[2:3], -v[130:131]
	v_add_f64 v[70:71], v[70:71], v[72:73]
	v_fma_f64 v[72:73], v[76:77], s[12:13], v[132:133]
	s_delay_alu instid0(VALU_DEP_1) | instskip(SKIP_1) | instid1(VALU_DEP_1)
	v_add_f64 v[68:69], v[72:73], v[68:69]
	v_fma_f64 v[72:73], v[78:79], s[12:13], -v[134:135]
	v_add_f64 v[70:71], v[72:73], v[70:71]
	v_fma_f64 v[72:73], v[12:13], s[28:29], v[136:137]
	s_delay_alu instid0(VALU_DEP_1) | instskip(SKIP_1) | instid1(VALU_DEP_1)
	;; [unrolled: 5-line block ×3, first 2 shown]
	v_add_f64 v[68:69], v[72:73], v[68:69]
	v_fma_f64 v[72:73], v[10:11], s[18:19], -v[142:143]
	v_add_f64 v[70:71], v[72:73], v[70:71]
	v_fma_f64 v[72:73], v[0:1], s[8:9], v[144:145]
                                        ; implicit-def: $vgpr144_vgpr145
	s_delay_alu instid0(VALU_DEP_2) | instskip(NEXT) | instid1(VALU_DEP_2)
	v_add_f64 v[70:71], v[74:75], v[70:71]
	v_add_f64 v[68:69], v[72:73], v[68:69]
	v_fma_f64 v[72:73], v[86:87], s[12:13], v[100:101]
	v_fma_f64 v[74:75], v[88:89], s[12:13], -v[102:103]
	s_delay_alu instid0(VALU_DEP_2) | instskip(NEXT) | instid1(VALU_DEP_2)
	v_add_f64 v[72:73], v[72:73], v[94:95]
	v_add_f64 v[74:75], v[74:75], v[110:111]
	v_fma_f64 v[94:95], v[2:3], s[28:29], -v[126:127]
	s_delay_alu instid0(VALU_DEP_3) | instskip(SKIP_1) | instid1(VALU_DEP_1)
	v_add_f64 v[72:73], v[90:91], v[72:73]
	v_fma_f64 v[90:91], v[78:79], s[2:3], -v[114:115]
	v_add_f64 v[74:75], v[90:91], v[74:75]
	v_fma_f64 v[90:91], v[12:13], s[8:9], v[116:117]
	s_delay_alu instid0(VALU_DEP_1) | instskip(SKIP_1) | instid1(VALU_DEP_1)
	v_add_f64 v[72:73], v[90:91], v[72:73]
	v_fma_f64 v[90:91], v[14:15], s[8:9], -v[118:119]
	v_add_f64 v[74:75], v[90:91], v[74:75]
	v_fma_f64 v[90:91], v[8:9], s[16:17], v[120:121]
	s_delay_alu instid0(VALU_DEP_1) | instskip(SKIP_1) | instid1(VALU_DEP_1)
	v_add_f64 v[72:73], v[90:91], v[72:73]
	v_fma_f64 v[90:91], v[10:11], s[16:17], -v[122:123]
	v_add_f64 v[74:75], v[90:91], v[74:75]
	v_fma_f64 v[90:91], v[0:1], s[28:29], v[124:125]
	s_delay_alu instid0(VALU_DEP_2) | instskip(NEXT) | instid1(VALU_DEP_2)
	v_add_f64 v[74:75], v[94:95], v[74:75]
	v_add_f64 v[72:73], v[90:91], v[72:73]
	v_fma_f64 v[90:91], v[86:87], s[18:19], -v[84:85]
	v_fma_f64 v[94:95], v[88:89], s[18:19], v[29:30]
	v_fma_f64 v[84:85], v[86:87], s[18:19], v[84:85]
	v_fma_f64 v[29:30], v[88:89], s[18:19], -v[29:30]
	s_delay_alu instid0(VALU_DEP_4) | instskip(NEXT) | instid1(VALU_DEP_4)
	v_add_f64 v[90:91], v[90:91], v[104:105]
	v_add_f64 v[92:93], v[94:95], v[92:93]
	v_fma_f64 v[94:95], v[76:77], s[16:17], -v[82:83]
	v_fma_f64 v[76:77], v[76:77], s[16:17], v[82:83]
	v_add_f64 v[29:30], v[29:30], v[108:109]
	s_delay_alu instid0(VALU_DEP_3) | instskip(SKIP_3) | instid1(VALU_DEP_3)
	v_add_f64 v[90:91], v[94:95], v[90:91]
	v_fma_f64 v[94:95], v[78:79], s[16:17], v[80:81]
	v_fma_f64 v[78:79], v[78:79], s[16:17], -v[80:81]
	v_add_f64 v[80:81], v[84:85], v[106:107]
	v_add_f64 v[92:93], v[94:95], v[92:93]
	v_fma_f64 v[94:95], v[12:13], s[12:13], -v[22:23]
	v_fma_f64 v[12:13], v[12:13], s[12:13], v[22:23]
	v_add_f64 v[22:23], v[78:79], v[29:30]
	s_delay_alu instid0(VALU_DEP_3) | instskip(SKIP_3) | instid1(VALU_DEP_3)
	v_add_f64 v[90:91], v[94:95], v[90:91]
	v_fma_f64 v[94:95], v[14:15], s[12:13], v[20:21]
	v_fma_f64 v[14:15], v[14:15], s[12:13], -v[20:21]
	v_add_f64 v[20:21], v[76:77], v[80:81]
	v_add_f64 v[92:93], v[94:95], v[92:93]
	v_fma_f64 v[94:95], v[8:9], s[8:9], -v[18:19]
	v_fma_f64 v[8:9], v[8:9], s[8:9], v[18:19]
	s_delay_alu instid0(VALU_DEP_4) | instskip(SKIP_1) | instid1(VALU_DEP_4)
	v_add_f64 v[12:13], v[12:13], v[20:21]
	v_add_f64 v[14:15], v[14:15], v[22:23]
	;; [unrolled: 1-line block ×3, first 2 shown]
	v_fma_f64 v[94:95], v[10:11], s[8:9], v[16:17]
	v_fma_f64 v[10:11], v[10:11], s[8:9], -v[16:17]
	v_add_f64 v[8:9], v[8:9], v[12:13]
	s_delay_alu instid0(VALU_DEP_3) | instskip(SKIP_4) | instid1(VALU_DEP_4)
	v_add_f64 v[92:93], v[94:95], v[92:93]
	v_mul_f64 v[94:95], v[6:7], s[14:15]
	v_fma_f64 v[6:7], v[2:3], s[2:3], v[96:97]
	v_fma_f64 v[2:3], v[2:3], s[2:3], -v[96:97]
	v_add_f64 v[10:11], v[10:11], v[14:15]
	v_fma_f64 v[4:5], v[0:1], s[2:3], -v[94:95]
	v_fma_f64 v[0:1], v[0:1], s[2:3], v[94:95]
	v_add_f64 v[6:7], v[6:7], v[92:93]
	s_delay_alu instid0(VALU_DEP_4) | instskip(SKIP_1) | instid1(VALU_DEP_4)
	v_add_f64 v[94:95], v[2:3], v[10:11]
	s_load_b64 s[2:3], s[0:1], 0x38
	v_add_f64 v[4:5], v[4:5], v[90:91]
	s_delay_alu instid0(VALU_DEP_4) | instskip(SKIP_1) | instid1(VALU_DEP_1)
	v_add_f64 v[92:93], v[0:1], v[8:9]
	v_mul_lo_u16 v0, v24, 13
	v_and_b32_e32 v0, 0xffff, v0
	s_delay_alu instid0(VALU_DEP_1)
	v_lshlrev_b32_e32 v246, 4, v0
	ds_store_b128 v246, v[36:39] offset:32
	ds_store_b128 v246, v[40:43] offset:48
	;; [unrolled: 1-line block ×11, first 2 shown]
	ds_store_b128 v246, v[25:28]
	ds_store_b128 v246, v[92:95] offset:192
	s_waitcnt lgkmcnt(0)
	s_barrier
	buffer_gl0_inv
	ds_load_b128 v[108:111], v255
	ds_load_b128 v[100:103], v255 offset:1872
	ds_load_b128 v[136:139], v255 offset:8112
	;; [unrolled: 1-line block ×11, first 2 shown]
	s_and_saveexec_b32 s0, vcc_lo
	s_cbranch_execz .LBB0_3
; %bb.2:
	ds_load_b128 v[92:95], v255 offset:7488
	ds_load_b128 v[144:147], v255 offset:15600
	ds_load_b128 v[148:151], v255 offset:23712
.LBB0_3:
	s_or_b32 exec_lo, exec_lo, s0
	v_add_nc_u16 v8, v200, 0x75
	v_add_co_u32 v3, null, 0xea, v200
	v_and_b32_e32 v1, 0xff, v200
	v_add_co_u32 v0, null, 0x15f, v200
	s_delay_alu instid0(VALU_DEP_4) | instskip(NEXT) | instid1(VALU_DEP_4)
	v_and_b32_e32 v9, 0xff, v8
	v_and_b32_e32 v5, 0xffff, v3
	s_delay_alu instid0(VALU_DEP_4)
	v_mul_lo_u16 v2, 0x4f, v1
	v_add_nc_u16 v1, v200, 0x1d4
	v_and_b32_e32 v4, 0xffff, v0
	v_mul_lo_u16 v6, 0x4f, v9
	v_mul_u32_u24_e32 v7, 0x4ec5, v5
	v_lshrrev_b16 v32, 10, v2
	v_and_b32_e32 v2, 0xffff, v1
	s_mov_b32 s0, 0xe8584caa
	v_lshrrev_b16 v33, 10, v6
	v_mul_u32_u24_e32 v6, 0x4ec5, v4
	v_lshrrev_b32_e32 v56, 18, v7
	v_mul_lo_u16 v7, v32, 13
	v_mul_u32_u24_e32 v10, 0x4ec5, v2
	v_mul_lo_u16 v11, v33, 13
	v_lshrrev_b32_e32 v57, 18, v6
	v_mul_lo_u16 v6, v56, 13
	v_sub_nc_u16 v7, v200, v7
	v_lshrrev_b32_e32 v12, 18, v10
	v_sub_nc_u16 v10, v8, v11
	v_mul_lo_u16 v11, v57, 13
	v_sub_nc_u16 v58, v3, v6
	v_and_b32_e32 v59, 0xff, v7
	v_mul_lo_u16 v6, v12, 13
	scratch_store_b32 off, v12, off offset:220 ; 4-byte Folded Spill
	v_sub_nc_u16 v61, v0, v11
	v_and_b32_e32 v60, 0xff, v10
	v_lshlrev_b32_e32 v10, 5, v59
	v_sub_nc_u16 v12, v1, v6
	v_lshlrev_b16 v7, 1, v58
	v_lshlrev_b16 v11, 1, v61
	v_lshlrev_b32_e32 v6, 5, v60
	s_clause 0x1
	global_load_b128 v[80:83], v10, s[10:11] offset:16
	global_load_b128 v[88:91], v10, s[10:11]
	v_lshlrev_b16 v10, 1, v12
	v_and_b32_e32 v7, 0xffff, v7
	v_and_b32_e32 v11, 0xffff, v11
	scratch_store_b32 off, v12, off offset:224 ; 4-byte Folded Spill
	s_clause 0x1
	global_load_b128 v[84:87], v6, s[10:11]
	global_load_b128 v[76:79], v6, s[10:11] offset:16
	v_and_b32_e32 v6, 0xffff, v10
	v_lshlrev_b32_e32 v7, 4, v7
	v_lshlrev_b32_e32 v10, 4, v11
	s_clause 0x1
	global_load_b128 v[72:75], v7, s[10:11]
	global_load_b128 v[68:71], v7, s[10:11] offset:16
	v_lshlrev_b32_e32 v6, 4, v6
	s_clause 0x3
	global_load_b128 v[156:159], v10, s[10:11]
	global_load_b128 v[62:65], v10, s[10:11] offset:16
	global_load_b128 v[152:155], v6, s[10:11]
	global_load_b128 v[52:55], v6, s[10:11] offset:16
	s_mov_b32 s1, 0x3febb67a
	s_mov_b32 s9, 0xbfebb67a
	;; [unrolled: 1-line block ×3, first 2 shown]
	s_waitcnt vmcnt(9) lgkmcnt(7)
	v_mul_f64 v[10:11], v[142:143], v[82:83]
	s_waitcnt vmcnt(8)
	v_mul_f64 v[6:7], v[138:139], v[90:91]
	v_mul_f64 v[12:13], v[136:137], v[90:91]
	;; [unrolled: 1-line block ×3, first 2 shown]
	s_waitcnt vmcnt(7)
	v_mul_f64 v[16:17], v[122:123], v[86:87]
	s_waitcnt vmcnt(6) lgkmcnt(6)
	v_mul_f64 v[18:19], v[126:127], v[78:79]
	v_mul_f64 v[20:21], v[120:121], v[86:87]
	;; [unrolled: 1-line block ×3, first 2 shown]
	s_waitcnt vmcnt(5) lgkmcnt(3)
	v_mul_f64 v[24:25], v[130:131], v[74:75]
	s_waitcnt vmcnt(4) lgkmcnt(1)
	v_mul_f64 v[26:27], v[134:135], v[70:71]
	v_mul_f64 v[28:29], v[128:129], v[74:75]
	v_mul_f64 v[30:31], v[132:133], v[70:71]
	s_waitcnt vmcnt(3)
	v_mul_f64 v[36:37], v[114:115], v[158:159]
	s_waitcnt vmcnt(2) lgkmcnt(0)
	v_mul_f64 v[38:39], v[118:119], v[64:65]
	v_mul_f64 v[40:41], v[112:113], v[158:159]
	;; [unrolled: 1-line block ×3, first 2 shown]
	s_waitcnt vmcnt(1)
	v_mul_f64 v[44:45], v[146:147], v[154:155]
	s_waitcnt vmcnt(0)
	v_mul_f64 v[46:47], v[150:151], v[54:55]
	v_mul_f64 v[48:49], v[144:145], v[154:155]
	;; [unrolled: 1-line block ×3, first 2 shown]
	s_clause 0x3
	scratch_store_b128 off, v[62:65], off offset:248
	scratch_store_b128 off, v[52:55], off offset:232
	;; [unrolled: 1-line block ×4, first 2 shown]
	s_waitcnt_vscnt null, 0x0
	s_barrier
	buffer_gl0_inv
	v_fma_f64 v[10:11], v[140:141], v[80:81], -v[10:11]
	v_fma_f64 v[6:7], v[136:137], v[88:89], -v[6:7]
	v_fma_f64 v[12:13], v[138:139], v[88:89], v[12:13]
	v_fma_f64 v[14:15], v[142:143], v[80:81], v[14:15]
	v_fma_f64 v[16:17], v[120:121], v[84:85], -v[16:17]
	v_fma_f64 v[18:19], v[124:125], v[76:77], -v[18:19]
	v_fma_f64 v[20:21], v[122:123], v[84:85], v[20:21]
	v_fma_f64 v[22:23], v[126:127], v[76:77], v[22:23]
	;; [unrolled: 4-line block ×5, first 2 shown]
	v_add_f64 v[52:53], v[6:7], v[10:11]
	v_add_f64 v[128:129], v[108:109], v[6:7]
	;; [unrolled: 1-line block ×3, first 2 shown]
	v_add_f64 v[130:131], v[12:13], -v[14:15]
	v_add_f64 v[12:13], v[110:111], v[12:13]
	v_add_f64 v[112:113], v[16:17], v[18:19]
	;; [unrolled: 1-line block ×5, first 2 shown]
	v_add_f64 v[6:7], v[6:7], -v[10:11]
	v_add_f64 v[136:137], v[104:105], v[24:25]
	v_add_f64 v[116:117], v[24:25], v[26:27]
	;; [unrolled: 1-line block ×12, first 2 shown]
	v_add_f64 v[148:149], v[28:29], -v[30:31]
	v_add_f64 v[150:151], v[36:37], -v[38:39]
	;; [unrolled: 1-line block ×4, first 2 shown]
	v_fma_f64 v[52:53], v[52:53], -0.5, v[108:109]
	v_add_f64 v[108:109], v[20:21], -v[22:23]
	v_fma_f64 v[54:55], v[54:55], -0.5, v[110:111]
	v_add_f64 v[110:111], v[16:17], -v[18:19]
	v_add_f64 v[10:11], v[128:129], v[10:11]
	v_fma_f64 v[100:101], v[112:113], -0.5, v[100:101]
	v_add_f64 v[12:13], v[12:13], v[14:15]
	v_fma_f64 v[102:103], v[114:115], -0.5, v[102:103]
	v_add_f64 v[14:15], v[132:133], v[18:19]
	v_add_f64 v[16:17], v[134:135], v[22:23]
	;; [unrolled: 1-line block ×3, first 2 shown]
	v_fma_f64 v[104:105], v[116:117], -0.5, v[104:105]
	v_add_f64 v[116:117], v[24:25], -v[26:27]
	v_fma_f64 v[106:107], v[118:119], -0.5, v[106:107]
	v_add_f64 v[118:119], v[40:41], -v[42:43]
	v_fma_f64 v[120:121], v[120:121], -0.5, v[96:97]
	v_add_f64 v[22:23], v[140:141], v[38:39]
	v_fma_f64 v[122:123], v[122:123], -0.5, v[98:99]
	v_add_f64 v[24:25], v[142:143], v[42:43]
	;; [unrolled: 2-line block ×4, first 2 shown]
	v_add_f64 v[20:21], v[138:139], v[30:31]
	v_mad_u16 v30, v56, 39, v58
	v_mad_u16 v31, v57, 39, v61
	s_delay_alu instid0(VALU_DEP_2) | instskip(NEXT) | instid1(VALU_DEP_2)
	v_and_b32_e32 v30, 0xffff, v30
	v_and_b32_e32 v31, 0xffff, v31
	v_fma_f64 v[26:27], v[130:131], s[0:1], v[52:53]
	v_fma_f64 v[36:37], v[130:131], s[8:9], v[52:53]
	;; [unrolled: 1-line block ×4, first 2 shown]
	v_and_b32_e32 v6, 0xffff, v32
	v_fma_f64 v[40:41], v[108:109], s[0:1], v[100:101]
	v_fma_f64 v[44:45], v[108:109], s[8:9], v[100:101]
	;; [unrolled: 1-line block ×4, first 2 shown]
	v_and_b32_e32 v7, 0xffff, v33
	v_mul_u32_u24_e32 v6, 39, v6
	v_fma_f64 v[92:93], v[148:149], s[8:9], v[104:105]
	v_fma_f64 v[48:49], v[148:149], s[0:1], v[104:105]
	;; [unrolled: 1-line block ×12, first 2 shown]
	v_mul_u32_u24_e32 v7, 39, v7
	v_add_lshl_u32 v33, v6, v59, 4
	v_lshlrev_b32_e32 v6, 4, v31
	ds_store_b128 v33, v[10:13]
	ds_store_b128 v33, v[26:29] offset:208
	v_add_lshl_u32 v32, v7, v60, 4
	v_lshlrev_b32_e32 v7, 4, v30
	scratch_store_b32 off, v33, off offset:304 ; 4-byte Folded Spill
	ds_store_b128 v33, v[36:39] offset:416
	ds_store_b128 v32, v[14:17]
	ds_store_b128 v32, v[40:43] offset:208
	scratch_store_b32 off, v32, off offset:300 ; 4-byte Folded Spill
	ds_store_b128 v32, v[44:47] offset:416
	ds_store_b128 v7, v[18:21]
	ds_store_b128 v7, v[48:51] offset:208
	;; [unrolled: 4-line block ×3, first 2 shown]
	scratch_store_b32 off, v6, off offset:228 ; 4-byte Folded Spill
	ds_store_b128 v6, v[100:103] offset:416
	s_and_saveexec_b32 s0, vcc_lo
	s_cbranch_execz .LBB0_5
; %bb.4:
	s_clause 0x1
	scratch_load_b32 v6, off, off offset:220
	scratch_load_b32 v7, off, off offset:224
	s_waitcnt vmcnt(0)
	v_mad_u16 v6, v6, 39, v7
	s_delay_alu instid0(VALU_DEP_1) | instskip(NEXT) | instid1(VALU_DEP_1)
	v_and_b32_e32 v6, 0xffff, v6
	v_lshlrev_b32_e32 v6, 4, v6
	ds_store_b128 v6, v[112:115]
	ds_store_b128 v6, v[124:127] offset:208
	ds_store_b128 v6, v[128:131] offset:416
.LBB0_5:
	s_or_b32 exec_lo, exec_lo, s0
	s_waitcnt lgkmcnt(0)
	s_waitcnt_vscnt null, 0x0
	s_barrier
	buffer_gl0_inv
	ds_load_b128 v[116:119], v255
	ds_load_b128 v[132:135], v255 offset:1872
	ds_load_b128 v[156:159], v255 offset:8112
	;; [unrolled: 1-line block ×11, first 2 shown]
	s_and_saveexec_b32 s0, vcc_lo
	s_cbranch_execz .LBB0_7
; %bb.6:
	ds_load_b128 v[112:115], v255 offset:7488
	ds_load_b128 v[124:127], v255 offset:15600
	;; [unrolled: 1-line block ×3, first 2 shown]
.LBB0_7:
	s_or_b32 exec_lo, exec_lo, s0
	v_mul_u32_u24_e32 v5, 0xa41b, v5
	v_mul_lo_u16 v9, 0xa5, v9
	s_delay_alu instid0(VALU_DEP_2) | instskip(NEXT) | instid1(VALU_DEP_2)
	v_lshrrev_b32_e32 v5, 16, v5
	v_lshrrev_b16 v9, 8, v9
	s_delay_alu instid0(VALU_DEP_2) | instskip(NEXT) | instid1(VALU_DEP_1)
	v_sub_nc_u16 v6, v3, v5
	v_lshrrev_b16 v6, 1, v6
	s_delay_alu instid0(VALU_DEP_1) | instskip(NEXT) | instid1(VALU_DEP_1)
	v_add_nc_u16 v5, v6, v5
	v_lshrrev_b16 v10, 5, v5
	s_delay_alu instid0(VALU_DEP_1) | instskip(NEXT) | instid1(VALU_DEP_1)
	v_mul_lo_u16 v5, v10, 39
	v_sub_nc_u16 v11, v3, v5
	s_delay_alu instid0(VALU_DEP_1) | instskip(NEXT) | instid1(VALU_DEP_1)
	v_lshlrev_b16 v3, 5, v11
	v_and_b32_e32 v3, 0xffff, v3
	s_delay_alu instid0(VALU_DEP_1) | instskip(NEXT) | instid1(VALU_DEP_1)
	v_add_co_u32 v5, s0, s10, v3
	v_add_co_ci_u32_e64 v6, null, s11, 0, s0
	v_mul_u32_u24_e32 v3, 0xa41b, v4
	s_clause 0x1
	global_load_b128 v[100:103], v[5:6], off offset:416
	global_load_b128 v[104:107], v[5:6], off offset:432
	v_lshrrev_b32_e32 v3, 16, v3
	s_delay_alu instid0(VALU_DEP_1) | instskip(NEXT) | instid1(VALU_DEP_1)
	v_sub_nc_u16 v4, v0, v3
	v_lshrrev_b16 v4, 1, v4
	s_delay_alu instid0(VALU_DEP_1) | instskip(NEXT) | instid1(VALU_DEP_1)
	v_add_nc_u16 v3, v4, v3
	v_lshrrev_b16 v32, 5, v3
	s_delay_alu instid0(VALU_DEP_1) | instskip(NEXT) | instid1(VALU_DEP_1)
	v_mul_lo_u16 v3, v32, 39
	v_sub_nc_u16 v33, v0, v3
	s_delay_alu instid0(VALU_DEP_1) | instskip(NEXT) | instid1(VALU_DEP_1)
	v_lshlrev_b16 v0, 5, v33
	v_and_b32_e32 v0, 0xffff, v0
	s_delay_alu instid0(VALU_DEP_1) | instskip(NEXT) | instid1(VALU_DEP_1)
	v_add_co_u32 v3, s0, s10, v0
	v_add_co_ci_u32_e64 v4, null, s11, 0, s0
	v_mul_u32_u24_e32 v0, 0xa41b, v2
	s_delay_alu instid0(VALU_DEP_1) | instskip(NEXT) | instid1(VALU_DEP_1)
	v_lshrrev_b32_e32 v0, 16, v0
	v_sub_nc_u16 v2, v1, v0
	s_delay_alu instid0(VALU_DEP_1) | instskip(NEXT) | instid1(VALU_DEP_1)
	v_lshrrev_b16 v2, 1, v2
	v_add_nc_u16 v0, v2, v0
	s_delay_alu instid0(VALU_DEP_1) | instskip(NEXT) | instid1(VALU_DEP_1)
	v_lshrrev_b16 v0, 5, v0
	v_mul_lo_u16 v0, v0, 39
	s_delay_alu instid0(VALU_DEP_1) | instskip(NEXT) | instid1(VALU_DEP_1)
	v_sub_nc_u16 v56, v1, v0
	v_lshlrev_b16 v0, 5, v56
	s_delay_alu instid0(VALU_DEP_1) | instskip(NEXT) | instid1(VALU_DEP_1)
	v_and_b32_e32 v0, 0xffff, v0
	v_add_co_u32 v0, s0, s10, v0
	s_delay_alu instid0(VALU_DEP_1)
	v_add_co_ci_u32_e64 v1, null, s11, 0, s0
	s_mov_b32 s0, 0xe8584caa
	s_mov_b32 s1, 0x3febb67a
	;; [unrolled: 1-line block ×3, first 2 shown]
	s_waitcnt vmcnt(1) lgkmcnt(3)
	v_mul_f64 v[5:6], v[122:123], v[102:103]
	s_delay_alu instid0(VALU_DEP_1) | instskip(SKIP_1) | instid1(VALU_DEP_2)
	v_fma_f64 v[16:17], v[120:121], v[100:101], -v[5:6]
	v_mul_f64 v[5:6], v[120:121], v[102:103]
	v_add_f64 v[38:39], v[148:149], v[16:17]
	s_delay_alu instid0(VALU_DEP_2) | instskip(SKIP_2) | instid1(VALU_DEP_2)
	v_fma_f64 v[12:13], v[122:123], v[100:101], v[5:6]
	s_waitcnt vmcnt(0) lgkmcnt(1)
	v_mul_f64 v[5:6], v[110:111], v[106:107]
	v_add_f64 v[36:37], v[150:151], v[12:13]
	s_delay_alu instid0(VALU_DEP_2) | instskip(SKIP_1) | instid1(VALU_DEP_1)
	v_fma_f64 v[18:19], v[108:109], v[104:105], -v[5:6]
	v_mul_f64 v[5:6], v[108:109], v[106:107]
	v_fma_f64 v[14:15], v[110:111], v[104:105], v[5:6]
	s_clause 0x1
	global_load_b128 v[108:111], v[3:4], off offset:416
	global_load_b128 v[120:123], v[3:4], off offset:432
	v_add_f64 v[46:47], v[12:13], -v[14:15]
	s_waitcnt vmcnt(1)
	v_mul_f64 v[3:4], v[98:99], v[110:111]
	s_delay_alu instid0(VALU_DEP_1) | instskip(SKIP_1) | instid1(VALU_DEP_2)
	v_fma_f64 v[28:29], v[96:97], v[108:109], -v[3:4]
	v_mul_f64 v[3:4], v[96:97], v[110:111]
	v_add_f64 v[48:49], v[144:145], v[28:29]
	s_delay_alu instid0(VALU_DEP_2) | instskip(SKIP_2) | instid1(VALU_DEP_1)
	v_fma_f64 v[24:25], v[98:99], v[108:109], v[3:4]
	s_waitcnt vmcnt(0) lgkmcnt(0)
	v_mul_f64 v[3:4], v[94:95], v[122:123]
	v_fma_f64 v[30:31], v[92:93], v[120:121], -v[3:4]
	v_mul_f64 v[3:4], v[92:93], v[122:123]
	s_delay_alu instid0(VALU_DEP_1)
	v_fma_f64 v[26:27], v[94:95], v[120:121], v[3:4]
	s_clause 0x1
	global_load_b128 v[4:7], v[0:1], off offset:416
	global_load_b128 v[20:23], v[0:1], off offset:432
	v_add_f64 v[50:51], v[24:25], -v[26:27]
	s_waitcnt vmcnt(1)
	v_mul_f64 v[0:1], v[126:127], v[6:7]
	v_mul_f64 v[2:3], v[124:125], v[6:7]
	scratch_store_b128 off, v[4:7], off offset:424 ; 16-byte Folded Spill
	s_waitcnt vmcnt(0)
	scratch_store_b128 off, v[20:23], off offset:440 ; 16-byte Folded Spill
	v_fma_f64 v[0:1], v[124:125], v[4:5], -v[0:1]
	v_fma_f64 v[6:7], v[126:127], v[4:5], v[2:3]
	v_mul_f64 v[2:3], v[130:131], v[22:23]
	v_mul_f64 v[4:5], v[128:129], v[22:23]
	v_add_f64 v[22:23], v[12:13], v[14:15]
	v_add_f64 v[14:15], v[36:37], v[14:15]
	;; [unrolled: 1-line block ×3, first 2 shown]
	v_add_f64 v[36:37], v[16:17], -v[18:19]
	v_add_f64 v[38:39], v[24:25], v[26:27]
	v_fma_f64 v[2:3], v[128:129], v[20:21], -v[2:3]
	v_fma_f64 v[4:5], v[130:131], v[20:21], v[4:5]
	v_sub_nc_u16 v20, v8, v9
	v_fma_f64 v[22:23], v[22:23], -0.5, v[150:151]
	v_fma_f64 v[38:39], v[38:39], -0.5, v[146:147]
	s_delay_alu instid0(VALU_DEP_3) | instskip(NEXT) | instid1(VALU_DEP_1)
	v_lshrrev_b16 v20, 1, v20
	v_and_b32_e32 v20, 0x7f, v20
	s_delay_alu instid0(VALU_DEP_1) | instskip(NEXT) | instid1(VALU_DEP_1)
	v_add_nc_u16 v9, v20, v9
	v_lshrrev_b16 v9, 5, v9
	s_delay_alu instid0(VALU_DEP_1) | instskip(NEXT) | instid1(VALU_DEP_1)
	v_and_b32_e32 v57, 7, v9
	v_mul_lo_u16 v9, v57, 39
	s_delay_alu instid0(VALU_DEP_1) | instskip(NEXT) | instid1(VALU_DEP_1)
	v_sub_nc_u16 v8, v8, v9
	v_and_b32_e32 v58, 0xff, v8
	s_delay_alu instid0(VALU_DEP_1)
	v_lshlrev_b32_e32 v8, 5, v58
	s_clause 0x1
	global_load_b128 v[124:127], v8, s[10:11] offset:416
	global_load_b128 v[128:131], v8, s[10:11] offset:432
	s_waitcnt vmcnt(1)
	v_mul_f64 v[20:21], v[140:141], v[126:127]
	v_mul_f64 v[8:9], v[142:143], v[126:127]
	s_delay_alu instid0(VALU_DEP_2) | instskip(SKIP_2) | instid1(VALU_DEP_3)
	v_fma_f64 v[40:41], v[142:143], v[124:125], v[20:21]
	s_waitcnt vmcnt(0)
	v_mul_f64 v[20:21], v[138:139], v[130:131]
	v_fma_f64 v[8:9], v[140:141], v[124:125], -v[8:9]
	s_delay_alu instid0(VALU_DEP_2) | instskip(SKIP_1) | instid1(VALU_DEP_3)
	v_fma_f64 v[44:45], v[136:137], v[128:129], -v[20:21]
	v_mul_f64 v[20:21], v[136:137], v[130:131]
	v_add_f64 v[96:97], v[132:133], v[8:9]
	s_delay_alu instid0(VALU_DEP_2) | instskip(SKIP_1) | instid1(VALU_DEP_1)
	v_fma_f64 v[42:43], v[138:139], v[128:129], v[20:21]
	v_and_b32_e32 v20, 0xff, v200
	v_mul_lo_u16 v20, 0xa5, v20
	s_delay_alu instid0(VALU_DEP_1) | instskip(NEXT) | instid1(VALU_DEP_1)
	v_lshrrev_b16 v20, 8, v20
	v_sub_nc_u16 v21, v200, v20
	s_delay_alu instid0(VALU_DEP_1) | instskip(NEXT) | instid1(VALU_DEP_1)
	v_lshrrev_b16 v21, 1, v21
	v_and_b32_e32 v21, 0x7f, v21
	s_delay_alu instid0(VALU_DEP_1) | instskip(NEXT) | instid1(VALU_DEP_1)
	v_add_nc_u16 v20, v21, v20
	v_lshrrev_b16 v20, 5, v20
	v_add_f64 v[98:99], v[40:41], -v[42:43]
	s_delay_alu instid0(VALU_DEP_2) | instskip(NEXT) | instid1(VALU_DEP_1)
	v_and_b32_e32 v59, 7, v20
	v_mul_lo_u16 v20, v59, 39
	s_delay_alu instid0(VALU_DEP_1) | instskip(NEXT) | instid1(VALU_DEP_1)
	v_sub_nc_u16 v20, v200, v20
	v_and_b32_e32 v60, 0xff, v20
	s_delay_alu instid0(VALU_DEP_1)
	v_lshlrev_b32_e32 v20, 5, v60
	s_clause 0x1
	global_load_b128 v[136:139], v20, s[10:11] offset:416
	global_load_b128 v[140:143], v20, s[10:11] offset:432
	s_waitcnt vmcnt(0)
	s_waitcnt_vscnt null, 0x0
	s_barrier
	buffer_gl0_inv
	v_mul_f64 v[20:21], v[158:159], v[138:139]
	s_delay_alu instid0(VALU_DEP_1) | instskip(SKIP_1) | instid1(VALU_DEP_1)
	v_fma_f64 v[52:53], v[156:157], v[136:137], -v[20:21]
	v_mul_f64 v[20:21], v[156:157], v[138:139]
	v_fma_f64 v[54:55], v[158:159], v[136:137], v[20:21]
	v_mul_f64 v[20:21], v[154:155], v[142:143]
	s_delay_alu instid0(VALU_DEP_1) | instskip(SKIP_1) | instid1(VALU_DEP_1)
	v_fma_f64 v[92:93], v[152:153], v[140:141], -v[20:21]
	v_mul_f64 v[20:21], v[152:153], v[142:143]
	v_fma_f64 v[94:95], v[154:155], v[140:141], v[20:21]
	v_add_f64 v[20:21], v[16:17], v[18:19]
	v_fma_f64 v[18:19], v[36:37], s[8:9], v[22:23]
	v_fma_f64 v[22:23], v[36:37], s[0:1], v[22:23]
	v_add_f64 v[36:37], v[28:29], v[30:31]
	s_delay_alu instid0(VALU_DEP_4) | instskip(NEXT) | instid1(VALU_DEP_2)
	v_fma_f64 v[20:21], v[20:21], -0.5, v[148:149]
	v_fma_f64 v[36:37], v[36:37], -0.5, v[144:145]
	s_delay_alu instid0(VALU_DEP_2) | instskip(SKIP_4) | instid1(VALU_DEP_3)
	v_fma_f64 v[16:17], v[46:47], s[0:1], v[20:21]
	v_fma_f64 v[20:21], v[46:47], s[8:9], v[20:21]
	v_add_f64 v[46:47], v[146:147], v[24:25]
	v_add_f64 v[24:25], v[48:49], v[30:31]
	;; [unrolled: 1-line block ×4, first 2 shown]
	v_add_f64 v[46:47], v[28:29], -v[30:31]
	v_fma_f64 v[28:29], v[50:51], s[0:1], v[36:37]
	v_fma_f64 v[36:37], v[50:51], s[8:9], v[36:37]
	v_fma_f64 v[50:51], v[48:49], -0.5, v[134:135]
	v_add_f64 v[48:49], v[134:135], v[40:41]
	v_add_f64 v[40:41], v[96:97], v[44:45]
	;; [unrolled: 1-line block ×3, first 2 shown]
	v_fma_f64 v[30:31], v[46:47], s[8:9], v[38:39]
	v_fma_f64 v[38:39], v[46:47], s[0:1], v[38:39]
	v_add_f64 v[46:47], v[8:9], v[44:45]
	v_add_f64 v[8:9], v[8:9], -v[44:45]
	v_add_f64 v[42:43], v[48:49], v[42:43]
	v_fma_f64 v[96:97], v[96:97], -0.5, v[118:119]
	s_delay_alu instid0(VALU_DEP_4) | instskip(NEXT) | instid1(VALU_DEP_1)
	v_fma_f64 v[46:47], v[46:47], -0.5, v[132:133]
	v_fma_f64 v[44:45], v[98:99], s[0:1], v[46:47]
	v_fma_f64 v[48:49], v[98:99], s[8:9], v[46:47]
	;; [unrolled: 1-line block ×4, first 2 shown]
	v_add_f64 v[8:9], v[52:53], v[92:93]
	v_add_f64 v[98:99], v[118:119], v[54:55]
	v_add_f64 v[54:55], v[54:55], -v[94:95]
	s_delay_alu instid0(VALU_DEP_3) | instskip(SKIP_3) | instid1(VALU_DEP_4)
	v_fma_f64 v[8:9], v[8:9], -0.5, v[116:117]
	v_add_f64 v[116:117], v[116:117], v[52:53]
	v_add_f64 v[52:53], v[52:53], -v[92:93]
	v_add_f64 v[118:119], v[98:99], v[94:95]
	v_fma_f64 v[132:133], v[54:55], s[0:1], v[8:9]
	v_fma_f64 v[144:145], v[54:55], s[8:9], v[8:9]
	v_add_f64 v[8:9], v[0:1], v[2:3]
	v_fma_f64 v[134:135], v[52:53], s[8:9], v[96:97]
	v_fma_f64 v[146:147], v[52:53], s[0:1], v[96:97]
	v_add_f64 v[52:53], v[6:7], v[4:5]
	v_add_f64 v[54:55], v[6:7], -v[4:5]
	v_add_f64 v[116:117], v[116:117], v[92:93]
	v_fma_f64 v[8:9], v[8:9], -0.5, v[112:113]
	s_delay_alu instid0(VALU_DEP_4) | instskip(NEXT) | instid1(VALU_DEP_2)
	v_fma_f64 v[52:53], v[52:53], -0.5, v[114:115]
	v_fma_f64 v[180:181], v[54:55], s[0:1], v[8:9]
	v_fma_f64 v[184:185], v[54:55], s[8:9], v[8:9]
	v_add_f64 v[8:9], v[0:1], -v[2:3]
	s_delay_alu instid0(VALU_DEP_1) | instskip(SKIP_2) | instid1(VALU_DEP_1)
	v_fma_f64 v[182:183], v[8:9], s[8:9], v[52:53]
	v_fma_f64 v[186:187], v[8:9], s[0:1], v[52:53]
	v_and_b32_e32 v8, 0xffff, v59
	v_mul_u32_u24_e32 v8, 0x75, v8
	s_delay_alu instid0(VALU_DEP_1)
	v_add_lshl_u32 v8, v8, v60, 4
	ds_store_b128 v8, v[116:119]
	ds_store_b128 v8, v[132:135] offset:624
	scratch_store_b32 off, v8, off offset:324 ; 4-byte Folded Spill
	ds_store_b128 v8, v[144:147] offset:1248
	v_and_b32_e32 v8, 0xffff, v57
	s_delay_alu instid0(VALU_DEP_1) | instskip(NEXT) | instid1(VALU_DEP_1)
	v_mul_u32_u24_e32 v8, 0x75, v8
	v_add_lshl_u32 v8, v8, v58, 4
	ds_store_b128 v8, v[40:43]
	ds_store_b128 v8, v[44:47] offset:624
	scratch_store_b32 off, v8, off offset:320 ; 4-byte Folded Spill
	ds_store_b128 v8, v[48:51] offset:1248
	v_mad_u16 v8, 0x75, v10, v11
	s_delay_alu instid0(VALU_DEP_1) | instskip(NEXT) | instid1(VALU_DEP_1)
	v_and_b32_e32 v8, 0xffff, v8
	v_lshlrev_b32_e32 v8, 4, v8
	ds_store_b128 v8, v[12:15]
	ds_store_b128 v8, v[16:19] offset:624
	scratch_store_b32 off, v8, off offset:316 ; 4-byte Folded Spill
	ds_store_b128 v8, v[20:23] offset:1248
	v_mad_u16 v8, 0x75, v32, v33
	s_delay_alu instid0(VALU_DEP_1) | instskip(NEXT) | instid1(VALU_DEP_1)
	v_and_b32_e32 v8, 0xffff, v8
	v_lshlrev_b32_e32 v8, 4, v8
	ds_store_b128 v8, v[24:27]
	ds_store_b128 v8, v[28:31] offset:624
	scratch_store_b32 off, v8, off offset:312 ; 4-byte Folded Spill
	ds_store_b128 v8, v[36:39] offset:1248
	v_and_b32_e32 v8, 0xffff, v56
	scratch_store_b32 off, v8, off offset:308 ; 4-byte Folded Spill
	s_and_saveexec_b32 s0, vcc_lo
	s_cbranch_execz .LBB0_9
; %bb.8:
	v_add_f64 v[0:1], v[112:113], v[0:1]
	v_add_f64 v[6:7], v[114:115], v[6:7]
	s_delay_alu instid0(VALU_DEP_2)
	v_add_f64 v[2:3], v[0:1], v[2:3]
	scratch_load_b32 v0, off, off offset:308 ; 4-byte Folded Reload
	v_add_f64 v[4:5], v[6:7], v[4:5]
	s_waitcnt vmcnt(0)
	v_lshlrev_b32_e32 v0, 4, v0
	ds_store_b128 v0, v[2:5] offset:22464
	ds_store_b128 v0, v[180:183] offset:23088
	;; [unrolled: 1-line block ×3, first 2 shown]
.LBB0_9:
	s_or_b32 exec_lo, exec_lo, s0
	v_mad_u64_u32 v[0:1], null, 0xc0, v200, s[10:11]
	scratch_store_b32 off, v200, off offset:216 ; 4-byte Folded Spill
	s_waitcnt lgkmcnt(0)
	s_waitcnt_vscnt null, 0x0
	s_barrier
	buffer_gl0_inv
	s_mov_b32 s20, 0x66966769
	s_mov_b32 s21, 0xbfefc445
	s_clause 0x2
	global_load_b128 v[132:135], v[0:1], off offset:1664
	global_load_b128 v[112:115], v[0:1], off offset:1680
	global_load_b128 v[116:119], v[0:1], off offset:1696
	ds_load_b128 v[144:147], v255 offset:1872
	ds_load_b128 v[2:5], v255
	ds_load_b128 v[6:9], v255 offset:3744
	ds_load_b128 v[10:13], v255 offset:5616
	global_load_b128 v[160:163], v[0:1], off offset:1712
	s_mov_b32 s26, 0xebaa3ed8
	s_mov_b32 s14, 0x2ef20147
	;; [unrolled: 1-line block ×31, first 2 shown]
	s_waitcnt vmcnt(3) lgkmcnt(3)
	v_mul_f64 v[14:15], v[146:147], v[134:135]
	s_waitcnt vmcnt(2) lgkmcnt(1)
	v_mul_f64 v[18:19], v[8:9], v[114:115]
	v_mul_f64 v[20:21], v[6:7], v[114:115]
	;; [unrolled: 1-line block ×3, first 2 shown]
	s_delay_alu instid0(VALU_DEP_4) | instskip(NEXT) | instid1(VALU_DEP_4)
	v_fma_f64 v[14:15], v[144:145], v[132:133], -v[14:15]
	v_fma_f64 v[32:33], v[6:7], v[112:113], -v[18:19]
	s_waitcnt vmcnt(1) lgkmcnt(0)
	v_mul_f64 v[6:7], v[12:13], v[118:119]
	s_delay_alu instid0(VALU_DEP_4) | instskip(SKIP_1) | instid1(VALU_DEP_3)
	v_fma_f64 v[16:17], v[146:147], v[132:133], v[16:17]
	v_fma_f64 v[196:197], v[8:9], v[112:113], v[20:21]
	v_fma_f64 v[198:199], v[10:11], v[116:117], -v[6:7]
	v_mul_f64 v[6:7], v[10:11], v[118:119]
	s_delay_alu instid0(VALU_DEP_1)
	v_fma_f64 v[200:201], v[12:13], v[116:117], v[6:7]
	ds_load_b128 v[6:9], v255 offset:7488
	ds_load_b128 v[10:13], v255 offset:9360
	s_clause 0x1
	global_load_b128 v[148:151], v[0:1], off offset:1728
	global_load_b128 v[144:147], v[0:1], off offset:1744
	s_waitcnt vmcnt(2) lgkmcnt(1)
	v_mul_f64 v[18:19], v[8:9], v[162:163]
	s_delay_alu instid0(VALU_DEP_1) | instskip(SKIP_1) | instid1(VALU_DEP_1)
	v_fma_f64 v[202:203], v[6:7], v[160:161], -v[18:19]
	v_mul_f64 v[6:7], v[6:7], v[162:163]
	v_fma_f64 v[204:205], v[8:9], v[160:161], v[6:7]
	s_waitcnt vmcnt(1) lgkmcnt(0)
	v_mul_f64 v[6:7], v[12:13], v[150:151]
	s_delay_alu instid0(VALU_DEP_1) | instskip(SKIP_1) | instid1(VALU_DEP_1)
	v_fma_f64 v[206:207], v[10:11], v[148:149], -v[6:7]
	v_mul_f64 v[6:7], v[10:11], v[150:151]
	v_fma_f64 v[208:209], v[12:13], v[148:149], v[6:7]
	ds_load_b128 v[6:9], v255 offset:11232
	ds_load_b128 v[10:13], v255 offset:13104
	s_clause 0x1
	global_load_b128 v[156:159], v[0:1], off offset:1760
	global_load_b128 v[152:155], v[0:1], off offset:1776
	s_waitcnt vmcnt(2) lgkmcnt(1)
	v_mul_f64 v[18:19], v[8:9], v[146:147]
	s_delay_alu instid0(VALU_DEP_1) | instskip(SKIP_1) | instid1(VALU_DEP_1)
	v_fma_f64 v[210:211], v[6:7], v[144:145], -v[18:19]
	v_mul_f64 v[6:7], v[6:7], v[146:147]
	v_fma_f64 v[212:213], v[8:9], v[144:145], v[6:7]
	s_waitcnt vmcnt(1) lgkmcnt(0)
	v_mul_f64 v[6:7], v[12:13], v[158:159]
	s_delay_alu instid0(VALU_DEP_1) | instskip(SKIP_1) | instid1(VALU_DEP_2)
	v_fma_f64 v[214:215], v[10:11], v[156:157], -v[6:7]
	v_mul_f64 v[6:7], v[10:11], v[158:159]
	v_add_f64 v[56:57], v[210:211], v[214:215]
	s_delay_alu instid0(VALU_DEP_2)
	v_fma_f64 v[216:217], v[12:13], v[156:157], v[6:7]
	ds_load_b128 v[6:9], v255 offset:14976
	ds_load_b128 v[10:13], v255 offset:16848
	s_clause 0x1
	global_load_b128 v[164:167], v[0:1], off offset:1792
	global_load_b128 v[168:171], v[0:1], off offset:1808
	v_add_f64 v[60:61], v[210:211], -v[214:215]
	s_waitcnt vmcnt(2) lgkmcnt(1)
	v_mul_f64 v[18:19], v[8:9], v[154:155]
	v_add_f64 v[62:63], v[212:213], v[216:217]
	s_delay_alu instid0(VALU_DEP_2) | instskip(SKIP_1) | instid1(VALU_DEP_2)
	v_fma_f64 v[218:219], v[6:7], v[152:153], -v[18:19]
	v_mul_f64 v[6:7], v[6:7], v[154:155]
	v_add_f64 v[253:254], v[206:207], v[218:219]
	s_delay_alu instid0(VALU_DEP_2) | instskip(SKIP_2) | instid1(VALU_DEP_1)
	v_fma_f64 v[220:221], v[8:9], v[152:153], v[6:7]
	s_waitcnt vmcnt(1) lgkmcnt(0)
	v_mul_f64 v[6:7], v[12:13], v[166:167]
	v_fma_f64 v[222:223], v[10:11], v[164:165], -v[6:7]
	v_mul_f64 v[6:7], v[10:11], v[166:167]
	s_delay_alu instid0(VALU_DEP_1)
	v_fma_f64 v[224:225], v[12:13], v[164:165], v[6:7]
	ds_load_b128 v[6:9], v255 offset:18720
	ds_load_b128 v[10:13], v255 offset:20592
	s_clause 0x1
	global_load_b128 v[172:175], v[0:1], off offset:1824
	global_load_b128 v[176:179], v[0:1], off offset:1840
	scratch_store_b64 off, v[32:33], off offset:352 ; 8-byte Folded Spill
	s_waitcnt vmcnt(2) lgkmcnt(1)
	v_mul_f64 v[18:19], v[8:9], v[170:171]
	s_delay_alu instid0(VALU_DEP_1) | instskip(SKIP_1) | instid1(VALU_DEP_2)
	v_fma_f64 v[226:227], v[6:7], v[168:169], -v[18:19]
	v_mul_f64 v[6:7], v[6:7], v[170:171]
	v_add_f64 v[244:245], v[198:199], v[226:227]
	s_delay_alu instid0(VALU_DEP_2) | instskip(SKIP_3) | instid1(VALU_DEP_1)
	v_fma_f64 v[228:229], v[8:9], v[168:169], v[6:7]
	ds_load_b128 v[6:9], v255 offset:22464
	s_waitcnt vmcnt(1) lgkmcnt(1)
	v_mul_f64 v[0:1], v[12:13], v[174:175]
	v_fma_f64 v[230:231], v[10:11], v[172:173], -v[0:1]
	v_mul_f64 v[0:1], v[10:11], v[174:175]
	s_delay_alu instid0(VALU_DEP_2) | instskip(NEXT) | instid1(VALU_DEP_2)
	v_add_f64 v[247:248], v[32:33], v[230:231]
	v_fma_f64 v[232:233], v[12:13], v[172:173], v[0:1]
	s_waitcnt vmcnt(0) lgkmcnt(0)
	v_mul_f64 v[0:1], v[6:7], v[178:179]
	s_delay_alu instid0(VALU_DEP_2) | instskip(NEXT) | instid1(VALU_DEP_2)
	v_add_f64 v[249:250], v[196:197], v[232:233]
	v_fma_f64 v[234:235], v[8:9], v[176:177], v[0:1]
	v_mul_f64 v[0:1], v[8:9], v[178:179]
	s_delay_alu instid0(VALU_DEP_2) | instskip(NEXT) | instid1(VALU_DEP_2)
	v_add_f64 v[46:47], v[16:17], v[234:235]
	v_fma_f64 v[236:237], v[6:7], v[176:177], -v[0:1]
	v_add_f64 v[0:1], v[16:17], -v[234:235]
	s_delay_alu instid0(VALU_DEP_2) | instskip(NEXT) | instid1(VALU_DEP_2)
	v_add_f64 v[20:21], v[14:15], v[236:237]
	v_mul_f64 v[10:11], v[0:1], s[20:21]
	v_mul_f64 v[12:13], v[0:1], s[14:15]
	;; [unrolled: 1-line block ×6, first 2 shown]
	v_fma_f64 v[26:27], v[20:21], s[26:27], -v[10:11]
	v_fma_f64 v[28:29], v[20:21], s[26:27], v[10:11]
	v_add_f64 v[10:11], v[14:15], -v[236:237]
	v_fma_f64 v[30:31], v[20:21], s[22:23], -v[12:13]
	v_fma_f64 v[38:39], v[20:21], s[22:23], v[12:13]
	v_fma_f64 v[22:23], v[20:21], s[28:29], -v[6:7]
	v_fma_f64 v[6:7], v[20:21], s[28:29], v[6:7]
	;; [unrolled: 2-line block ×5, first 2 shown]
	v_mul_f64 v[12:13], v[10:11], s[30:31]
	v_mul_f64 v[42:43], v[10:11], s[14:15]
	;; [unrolled: 1-line block ×6, first 2 shown]
	v_add_f64 v[238:239], v[2:3], v[22:23]
	v_add_f64 v[64:65], v[2:3], v[40:41]
	v_add_f64 v[40:41], v[202:203], -v[222:223]
	v_add_f64 v[0:1], v[2:3], v[0:1]
	v_fma_f64 v[48:49], v[46:47], s[28:29], v[12:13]
	v_fma_f64 v[96:97], v[46:47], s[22:23], v[42:43]
	v_fma_f64 v[190:191], v[46:47], s[16:17], -v[44:45]
	v_fma_f64 v[12:13], v[46:47], s[28:29], -v[12:13]
	v_fma_f64 v[52:53], v[46:47], s[24:25], v[20:21]
	v_fma_f64 v[192:193], v[46:47], s[12:13], v[10:11]
	v_fma_f64 v[194:195], v[46:47], s[12:13], -v[10:11]
	v_add_f64 v[10:11], v[2:3], v[14:15]
	v_fma_f64 v[20:21], v[46:47], s[24:25], -v[20:21]
	v_fma_f64 v[92:93], v[46:47], s[26:27], v[36:37]
	scratch_store_b64 off, v[0:1], off offset:360 ; 8-byte Folded Spill
	v_fma_f64 v[94:95], v[46:47], s[26:27], -v[36:37]
	v_fma_f64 v[98:99], v[46:47], s[22:23], -v[42:43]
	v_fma_f64 v[188:189], v[46:47], s[16:17], v[44:45]
	v_add_f64 v[44:45], v[2:3], v[24:25]
	v_add_f64 v[36:37], v[2:3], v[8:9]
	;; [unrolled: 1-line block ×9, first 2 shown]
	scratch_store_b64 off, v[10:11], off offset:336 ; 8-byte Folded Spill
	v_add_f64 v[10:11], v[4:5], v[16:17]
	v_add_f64 v[16:17], v[2:3], v[30:31]
	;; [unrolled: 1-line block ×7, first 2 shown]
	scratch_store_b64 off, v[6:7], off offset:416 ; 8-byte Folded Spill
	v_add_f64 v[6:7], v[2:3], v[38:39]
	v_add_f64 v[38:39], v[204:205], -v[224:225]
	scratch_store_b64 off, v[0:1], off offset:368 ; 8-byte Folded Spill
	v_add_f64 v[0:1], v[196:197], -v[232:233]
	scratch_store_b64 off, v[10:11], off offset:344 ; 8-byte Folded Spill
	v_add_f64 v[10:11], v[2:3], v[26:27]
	scratch_store_b64 off, v[6:7], off offset:408 ; 8-byte Folded Spill
	v_add_f64 v[6:7], v[2:3], v[18:19]
	v_mul_f64 v[242:243], v[38:39], s[14:15]
	scratch_store_b64 off, v[6:7], off offset:400 ; 8-byte Folded Spill
	v_add_f64 v[6:7], v[4:5], v[190:191]
	scratch_store_b64 off, v[6:7], off offset:392 ; 8-byte Folded Spill
	v_add_f64 v[6:7], v[2:3], v[50:51]
	v_mul_f64 v[50:51], v[0:1], s[18:19]
	scratch_store_b64 off, v[6:7], off offset:384 ; 8-byte Folded Spill
	v_add_f64 v[6:7], v[4:5], v[192:193]
	v_fma_f64 v[2:3], v[247:248], s[24:25], -v[50:51]
	v_fma_f64 v[50:51], v[247:248], s[24:25], v[50:51]
	scratch_store_b64 off, v[6:7], off offset:376 ; 8-byte Folded Spill
	v_add_f64 v[4:5], v[2:3], v[238:239]
	v_add_f64 v[2:3], v[32:33], -v[230:231]
	v_mul_f64 v[238:239], v[40:41], s[14:15]
	v_add_f64 v[48:49], v[50:51], v[48:49]
	v_add_f64 v[32:33], v[212:213], -v[216:217]
	s_delay_alu instid0(VALU_DEP_4) | instskip(NEXT) | instid1(VALU_DEP_2)
	v_mul_f64 v[6:7], v[2:3], s[18:19]
	v_mul_f64 v[58:59], v[32:33], s[8:9]
	;; [unrolled: 1-line block ×3, first 2 shown]
	s_delay_alu instid0(VALU_DEP_3) | instskip(SKIP_1) | instid1(VALU_DEP_2)
	v_fma_f64 v[18:19], v[249:250], s[24:25], v[6:7]
	v_fma_f64 v[6:7], v[249:250], s[24:25], -v[6:7]
	v_add_f64 v[24:25], v[18:19], v[240:241]
	v_add_f64 v[18:19], v[200:201], -v[228:229]
	s_delay_alu instid0(VALU_DEP_3) | instskip(SKIP_1) | instid1(VALU_DEP_3)
	v_add_f64 v[6:7], v[6:7], v[46:47]
	v_add_f64 v[240:241], v[208:209], v[220:221]
	v_mul_f64 v[192:193], v[18:19], s[20:21]
	s_delay_alu instid0(VALU_DEP_1) | instskip(SKIP_1) | instid1(VALU_DEP_2)
	v_fma_f64 v[20:21], v[244:245], s[26:27], -v[192:193]
	v_fma_f64 v[46:47], v[244:245], s[26:27], v[192:193]
	v_add_f64 v[28:29], v[20:21], v[4:5]
	v_add_f64 v[20:21], v[198:199], -v[226:227]
	v_add_f64 v[4:5], v[200:201], v[228:229]
	s_delay_alu instid0(VALU_DEP_4) | instskip(NEXT) | instid1(VALU_DEP_3)
	v_add_f64 v[46:47], v[46:47], v[48:49]
	v_mul_f64 v[251:252], v[20:21], s[20:21]
	s_delay_alu instid0(VALU_DEP_1) | instskip(SKIP_1) | instid1(VALU_DEP_2)
	v_fma_f64 v[26:27], v[4:5], s[26:27], v[251:252]
	v_fma_f64 v[48:49], v[4:5], s[26:27], -v[251:252]
	v_add_f64 v[24:25], v[26:27], v[24:25]
	v_add_f64 v[26:27], v[202:203], v[222:223]
	s_delay_alu instid0(VALU_DEP_3) | instskip(NEXT) | instid1(VALU_DEP_2)
	v_add_f64 v[6:7], v[48:49], v[6:7]
	v_fma_f64 v[30:31], v[26:27], s[22:23], -v[242:243]
	v_fma_f64 v[48:49], v[26:27], s[22:23], v[242:243]
	s_delay_alu instid0(VALU_DEP_2) | instskip(SKIP_1) | instid1(VALU_DEP_3)
	v_add_f64 v[30:31], v[30:31], v[28:29]
	v_add_f64 v[28:29], v[204:205], v[224:225]
	;; [unrolled: 1-line block ×3, first 2 shown]
	s_delay_alu instid0(VALU_DEP_2) | instskip(SKIP_2) | instid1(VALU_DEP_3)
	v_fma_f64 v[52:53], v[28:29], s[22:23], v[238:239]
	v_fma_f64 v[48:49], v[28:29], s[22:23], -v[238:239]
	v_mul_f64 v[238:239], v[60:61], s[36:37]
	v_add_f64 v[52:53], v[52:53], v[24:25]
	v_add_f64 v[24:25], v[208:209], -v[220:221]
	s_delay_alu instid0(VALU_DEP_4) | instskip(NEXT) | instid1(VALU_DEP_2)
	v_add_f64 v[6:7], v[48:49], v[6:7]
	v_mul_f64 v[92:93], v[24:25], s[10:11]
	v_mul_f64 v[251:252], v[24:25], s[36:37]
	s_delay_alu instid0(VALU_DEP_2) | instskip(SKIP_1) | instid1(VALU_DEP_2)
	v_fma_f64 v[94:95], v[253:254], s[16:17], -v[92:93]
	v_fma_f64 v[48:49], v[253:254], s[16:17], v[92:93]
	v_add_f64 v[94:95], v[94:95], v[30:31]
	v_add_f64 v[30:31], v[206:207], -v[218:219]
	s_delay_alu instid0(VALU_DEP_3) | instskip(NEXT) | instid1(VALU_DEP_2)
	v_add_f64 v[46:47], v[48:49], v[46:47]
	v_mul_f64 v[96:97], v[30:31], s[10:11]
	s_delay_alu instid0(VALU_DEP_1) | instskip(SKIP_1) | instid1(VALU_DEP_2)
	v_fma_f64 v[98:99], v[240:241], s[16:17], v[96:97]
	v_fma_f64 v[48:49], v[240:241], s[16:17], -v[96:97]
	v_add_f64 v[52:53], v[98:99], v[52:53]
	v_fma_f64 v[98:99], v[56:57], s[12:13], -v[58:59]
	s_delay_alu instid0(VALU_DEP_3) | instskip(SKIP_1) | instid1(VALU_DEP_3)
	v_add_f64 v[6:7], v[48:49], v[6:7]
	v_fma_f64 v[48:49], v[56:57], s[12:13], v[58:59]
	v_add_f64 v[188:189], v[98:99], v[94:95]
	v_mul_f64 v[94:95], v[60:61], s[8:9]
	s_delay_alu instid0(VALU_DEP_3) | instskip(NEXT) | instid1(VALU_DEP_2)
	v_add_f64 v[46:47], v[48:49], v[46:47]
	v_fma_f64 v[50:51], v[62:63], s[12:13], -v[94:95]
	v_fma_f64 v[98:99], v[62:63], s[12:13], v[94:95]
	s_delay_alu instid0(VALU_DEP_2) | instskip(SKIP_1) | instid1(VALU_DEP_3)
	v_add_f64 v[48:49], v[50:51], v[6:7]
	v_mul_f64 v[6:7], v[0:1], s[14:15]
	v_add_f64 v[190:191], v[98:99], v[52:53]
	s_delay_alu instid0(VALU_DEP_2) | instskip(SKIP_1) | instid1(VALU_DEP_2)
	v_fma_f64 v[50:51], v[247:248], s[22:23], -v[6:7]
	v_fma_f64 v[6:7], v[247:248], s[22:23], v[6:7]
	v_add_f64 v[44:45], v[50:51], v[44:45]
	v_mul_f64 v[50:51], v[2:3], s[14:15]
	s_delay_alu instid0(VALU_DEP_3) | instskip(NEXT) | instid1(VALU_DEP_2)
	v_add_f64 v[6:7], v[6:7], v[36:37]
	v_fma_f64 v[52:53], v[249:250], s[22:23], v[50:51]
	v_fma_f64 v[36:37], v[249:250], s[22:23], -v[50:51]
	v_fma_f64 v[50:51], v[62:63], s[28:29], -v[238:239]
	s_delay_alu instid0(VALU_DEP_3) | instskip(SKIP_1) | instid1(VALU_DEP_4)
	v_add_f64 v[42:43], v[52:53], v[42:43]
	v_mul_f64 v[52:53], v[18:19], s[8:9]
	v_add_f64 v[8:9], v[36:37], v[8:9]
	s_delay_alu instid0(VALU_DEP_2) | instskip(SKIP_1) | instid1(VALU_DEP_2)
	v_fma_f64 v[58:59], v[244:245], s[12:13], -v[52:53]
	v_fma_f64 v[36:37], v[244:245], s[12:13], v[52:53]
	v_add_f64 v[44:45], v[58:59], v[44:45]
	v_mul_f64 v[58:59], v[20:21], s[8:9]
	s_delay_alu instid0(VALU_DEP_3) | instskip(NEXT) | instid1(VALU_DEP_2)
	v_add_f64 v[6:7], v[36:37], v[6:7]
	v_fma_f64 v[92:93], v[4:5], s[12:13], v[58:59]
	v_fma_f64 v[36:37], v[4:5], s[12:13], -v[58:59]
	s_delay_alu instid0(VALU_DEP_2) | instskip(SKIP_1) | instid1(VALU_DEP_3)
	v_add_f64 v[42:43], v[92:93], v[42:43]
	v_mul_f64 v[92:93], v[38:39], s[38:39]
	v_add_f64 v[8:9], v[36:37], v[8:9]
	s_delay_alu instid0(VALU_DEP_2) | instskip(SKIP_1) | instid1(VALU_DEP_2)
	v_fma_f64 v[94:95], v[26:27], s[16:17], -v[92:93]
	v_fma_f64 v[36:37], v[26:27], s[16:17], v[92:93]
	v_add_f64 v[44:45], v[94:95], v[44:45]
	v_mul_f64 v[94:95], v[40:41], s[38:39]
	s_delay_alu instid0(VALU_DEP_3) | instskip(NEXT) | instid1(VALU_DEP_2)
	v_add_f64 v[6:7], v[36:37], v[6:7]
	v_fma_f64 v[96:97], v[28:29], s[16:17], v[94:95]
	v_fma_f64 v[36:37], v[28:29], s[16:17], -v[94:95]
	s_delay_alu instid0(VALU_DEP_2) | instskip(SKIP_1) | instid1(VALU_DEP_3)
	v_add_f64 v[42:43], v[96:97], v[42:43]
	v_mul_f64 v[96:97], v[24:25], s[34:35]
	v_add_f64 v[8:9], v[36:37], v[8:9]
	s_delay_alu instid0(VALU_DEP_2) | instskip(SKIP_1) | instid1(VALU_DEP_2)
	v_fma_f64 v[98:99], v[253:254], s[26:27], -v[96:97]
	v_fma_f64 v[36:37], v[253:254], s[26:27], v[96:97]
	v_add_f64 v[44:45], v[98:99], v[44:45]
	v_mul_f64 v[98:99], v[30:31], s[34:35]
	s_delay_alu instid0(VALU_DEP_3) | instskip(NEXT) | instid1(VALU_DEP_2)
	v_add_f64 v[6:7], v[36:37], v[6:7]
	v_fma_f64 v[36:37], v[240:241], s[26:27], -v[98:99]
	v_fma_f64 v[192:193], v[240:241], s[26:27], v[98:99]
	s_delay_alu instid0(VALU_DEP_2) | instskip(SKIP_1) | instid1(VALU_DEP_3)
	v_add_f64 v[8:9], v[36:37], v[8:9]
	v_fma_f64 v[36:37], v[56:57], s[28:29], v[194:195]
	v_add_f64 v[192:193], v[192:193], v[42:43]
	v_fma_f64 v[42:43], v[56:57], s[28:29], -v[194:195]
	s_delay_alu instid0(VALU_DEP_4) | instskip(NEXT) | instid1(VALU_DEP_4)
	v_add_f64 v[8:9], v[50:51], v[8:9]
	v_add_f64 v[6:7], v[36:37], v[6:7]
	v_mul_f64 v[36:37], v[0:1], s[8:9]
	s_delay_alu instid0(VALU_DEP_4) | instskip(SKIP_1) | instid1(VALU_DEP_3)
	v_add_f64 v[42:43], v[42:43], v[44:45]
	v_fma_f64 v[44:45], v[62:63], s[28:29], v[238:239]
	v_fma_f64 v[50:51], v[247:248], s[12:13], -v[36:37]
	v_fma_f64 v[36:37], v[247:248], s[12:13], v[36:37]
	s_delay_alu instid0(VALU_DEP_3) | instskip(NEXT) | instid1(VALU_DEP_3)
	v_add_f64 v[44:45], v[44:45], v[192:193]
	v_add_f64 v[10:11], v[50:51], v[10:11]
	v_mul_f64 v[50:51], v[2:3], s[8:9]
	s_delay_alu instid0(VALU_DEP_4) | instskip(NEXT) | instid1(VALU_DEP_2)
	v_add_f64 v[14:15], v[36:37], v[14:15]
	v_fma_f64 v[52:53], v[249:250], s[12:13], v[50:51]
	v_fma_f64 v[36:37], v[249:250], s[12:13], -v[50:51]
	s_delay_alu instid0(VALU_DEP_2) | instskip(SKIP_1) | instid1(VALU_DEP_3)
	v_add_f64 v[12:13], v[52:53], v[12:13]
	v_mul_f64 v[52:53], v[18:19], s[40:41]
	v_add_f64 v[22:23], v[36:37], v[22:23]
	s_delay_alu instid0(VALU_DEP_2) | instskip(SKIP_1) | instid1(VALU_DEP_2)
	v_fma_f64 v[58:59], v[244:245], s[22:23], -v[52:53]
	v_fma_f64 v[36:37], v[244:245], s[22:23], v[52:53]
	v_add_f64 v[10:11], v[58:59], v[10:11]
	v_mul_f64 v[58:59], v[20:21], s[40:41]
	s_delay_alu instid0(VALU_DEP_3) | instskip(NEXT) | instid1(VALU_DEP_2)
	v_add_f64 v[14:15], v[36:37], v[14:15]
	v_fma_f64 v[92:93], v[4:5], s[22:23], v[58:59]
	v_fma_f64 v[36:37], v[4:5], s[22:23], -v[58:59]
	s_delay_alu instid0(VALU_DEP_2) | instskip(SKIP_1) | instid1(VALU_DEP_3)
	v_add_f64 v[12:13], v[92:93], v[12:13]
	v_mul_f64 v[92:93], v[38:39], s[36:37]
	v_add_f64 v[22:23], v[36:37], v[22:23]
	s_delay_alu instid0(VALU_DEP_2) | instskip(SKIP_1) | instid1(VALU_DEP_2)
	v_fma_f64 v[94:95], v[26:27], s[28:29], -v[92:93]
	v_fma_f64 v[36:37], v[26:27], s[28:29], v[92:93]
	v_add_f64 v[10:11], v[94:95], v[10:11]
	v_mul_f64 v[94:95], v[40:41], s[36:37]
	s_delay_alu instid0(VALU_DEP_3) | instskip(NEXT) | instid1(VALU_DEP_2)
	;; [unrolled: 13-line block ×3, first 2 shown]
	v_add_f64 v[14:15], v[36:37], v[14:15]
	v_fma_f64 v[192:193], v[240:241], s[24:25], v[98:99]
	v_fma_f64 v[36:37], v[240:241], s[24:25], -v[98:99]
	s_delay_alu instid0(VALU_DEP_2) | instskip(SKIP_1) | instid1(VALU_DEP_3)
	v_add_f64 v[12:13], v[192:193], v[12:13]
	v_mul_f64 v[192:193], v[32:33], s[10:11]
	v_add_f64 v[22:23], v[36:37], v[22:23]
	s_delay_alu instid0(VALU_DEP_2) | instskip(SKIP_1) | instid1(VALU_DEP_2)
	v_fma_f64 v[194:195], v[56:57], s[16:17], -v[192:193]
	v_fma_f64 v[36:37], v[56:57], s[16:17], v[192:193]
	v_add_f64 v[10:11], v[194:195], v[10:11]
	v_mul_f64 v[194:195], v[60:61], s[10:11]
	s_delay_alu instid0(VALU_DEP_3) | instskip(SKIP_1) | instid1(VALU_DEP_3)
	v_add_f64 v[92:93], v[36:37], v[14:15]
	v_mul_f64 v[36:37], v[2:3], s[38:39]
	v_fma_f64 v[50:51], v[62:63], s[16:17], -v[194:195]
	v_fma_f64 v[238:239], v[62:63], s[16:17], v[194:195]
	s_delay_alu instid0(VALU_DEP_2) | instskip(SKIP_3) | instid1(VALU_DEP_2)
	v_add_f64 v[94:95], v[50:51], v[22:23]
	scratch_load_b64 v[50:51], off, off offset:416 ; 8-byte Folded Reload
	v_mul_f64 v[22:23], v[0:1], s[38:39]
	v_add_f64 v[12:13], v[238:239], v[12:13]
	v_fma_f64 v[14:15], v[247:248], s[16:17], -v[22:23]
	v_fma_f64 v[22:23], v[247:248], s[16:17], v[22:23]
	s_delay_alu instid0(VALU_DEP_2) | instskip(SKIP_2) | instid1(VALU_DEP_1)
	v_add_f64 v[14:15], v[14:15], v[16:17]
	v_fma_f64 v[16:17], v[249:250], s[16:17], v[36:37]
	v_fma_f64 v[36:37], v[249:250], s[16:17], -v[36:37]
	v_add_f64 v[36:37], v[36:37], v[66:67]
	v_mul_f64 v[66:67], v[32:33], s[14:15]
	s_waitcnt vmcnt(0)
	s_delay_alu instid0(VALU_DEP_4) | instskip(SKIP_1) | instid1(VALU_DEP_1)
	v_add_f64 v[16:17], v[16:17], v[50:51]
	v_mul_f64 v[50:51], v[18:19], s[36:37]
	v_fma_f64 v[52:53], v[244:245], s[28:29], -v[50:51]
	v_fma_f64 v[50:51], v[244:245], s[28:29], v[50:51]
	s_delay_alu instid0(VALU_DEP_2) | instskip(SKIP_1) | instid1(VALU_DEP_1)
	v_add_f64 v[14:15], v[52:53], v[14:15]
	v_mul_f64 v[52:53], v[20:21], s[36:37]
	v_fma_f64 v[58:59], v[4:5], s[28:29], v[52:53]
	s_delay_alu instid0(VALU_DEP_1) | instskip(SKIP_1) | instid1(VALU_DEP_1)
	v_add_f64 v[16:17], v[58:59], v[16:17]
	v_mul_f64 v[58:59], v[38:39], s[20:21]
	v_fma_f64 v[96:97], v[26:27], s[26:27], -v[58:59]
	s_delay_alu instid0(VALU_DEP_1) | instskip(SKIP_1) | instid1(VALU_DEP_1)
	v_add_f64 v[14:15], v[96:97], v[14:15]
	v_mul_f64 v[96:97], v[40:41], s[20:21]
	v_fma_f64 v[98:99], v[28:29], s[26:27], v[96:97]
	s_delay_alu instid0(VALU_DEP_1) | instskip(SKIP_2) | instid1(VALU_DEP_2)
	v_add_f64 v[16:17], v[98:99], v[16:17]
	v_mul_f64 v[98:99], v[24:25], s[44:45]
	v_mul_f64 v[24:25], v[24:25], s[14:15]
	v_fma_f64 v[192:193], v[253:254], s[12:13], -v[98:99]
	s_delay_alu instid0(VALU_DEP_1) | instskip(SKIP_1) | instid1(VALU_DEP_1)
	v_add_f64 v[14:15], v[192:193], v[14:15]
	v_mul_f64 v[192:193], v[30:31], s[44:45]
	v_fma_f64 v[194:195], v[240:241], s[12:13], v[192:193]
	s_delay_alu instid0(VALU_DEP_1) | instskip(SKIP_2) | instid1(VALU_DEP_2)
	v_add_f64 v[16:17], v[194:195], v[16:17]
	v_mul_f64 v[194:195], v[32:33], s[42:43]
	v_mul_f64 v[32:33], v[32:33], s[34:35]
	v_fma_f64 v[238:239], v[56:57], s[24:25], -v[194:195]
	s_delay_alu instid0(VALU_DEP_1) | instskip(SKIP_1) | instid1(VALU_DEP_1)
	v_add_f64 v[14:15], v[238:239], v[14:15]
	v_mul_f64 v[238:239], v[60:61], s[42:43]
	v_fma_f64 v[242:243], v[62:63], s[24:25], v[238:239]
	s_delay_alu instid0(VALU_DEP_1)
	v_add_f64 v[16:17], v[242:243], v[16:17]
	scratch_load_b64 v[242:243], off, off offset:408 ; 8-byte Folded Reload
	s_waitcnt vmcnt(0)
	v_add_f64 v[22:23], v[22:23], v[242:243]
	v_mul_f64 v[242:243], v[40:41], s[44:45]
	v_mul_f64 v[40:41], v[40:41], s[42:43]
	s_delay_alu instid0(VALU_DEP_3) | instskip(SKIP_4) | instid1(VALU_DEP_4)
	v_add_f64 v[22:23], v[50:51], v[22:23]
	v_fma_f64 v[50:51], v[4:5], s[28:29], -v[52:53]
	v_fma_f64 v[52:53], v[62:63], s[24:25], -v[238:239]
	v_mul_f64 v[238:239], v[38:39], s[44:45]
	v_mul_f64 v[38:39], v[38:39], s[42:43]
	v_add_f64 v[36:37], v[50:51], v[36:37]
	v_fma_f64 v[50:51], v[26:27], s[26:27], v[58:59]
	v_mul_f64 v[58:59], v[2:3], s[34:35]
	s_delay_alu instid0(VALU_DEP_2) | instskip(SKIP_1) | instid1(VALU_DEP_1)
	v_add_f64 v[22:23], v[50:51], v[22:23]
	v_fma_f64 v[50:51], v[28:29], s[26:27], -v[96:97]
	v_add_f64 v[36:37], v[50:51], v[36:37]
	v_fma_f64 v[50:51], v[253:254], s[12:13], v[98:99]
	s_delay_alu instid0(VALU_DEP_1) | instskip(SKIP_3) | instid1(VALU_DEP_3)
	v_add_f64 v[22:23], v[50:51], v[22:23]
	v_fma_f64 v[50:51], v[240:241], s[12:13], -v[192:193]
	v_mul_f64 v[192:193], v[18:19], s[18:19]
	v_mul_f64 v[18:19], v[18:19], s[10:11]
	v_add_f64 v[36:37], v[50:51], v[36:37]
	v_fma_f64 v[50:51], v[56:57], s[24:25], v[194:195]
	v_mul_f64 v[194:195], v[20:21], s[18:19]
	v_mul_f64 v[20:21], v[20:21], s[10:11]
	s_delay_alu instid0(VALU_DEP_4) | instskip(NEXT) | instid1(VALU_DEP_4)
	v_add_f64 v[98:99], v[52:53], v[36:37]
	v_add_f64 v[96:97], v[50:51], v[22:23]
	v_mul_f64 v[22:23], v[0:1], s[34:35]
	v_fma_f64 v[50:51], v[249:250], s[26:27], v[58:59]
	v_fma_f64 v[52:53], v[244:245], s[24:25], -v[192:193]
	s_delay_alu instid0(VALU_DEP_3) | instskip(NEXT) | instid1(VALU_DEP_3)
	v_fma_f64 v[36:37], v[247:248], s[26:27], -v[22:23]
	v_add_f64 v[50:51], v[50:51], v[54:55]
	v_fma_f64 v[22:23], v[247:248], s[26:27], v[22:23]
	s_delay_alu instid0(VALU_DEP_3) | instskip(SKIP_2) | instid1(VALU_DEP_3)
	v_add_f64 v[36:37], v[36:37], v[64:65]
	v_mul_f64 v[64:65], v[30:31], s[36:37]
	v_mul_f64 v[30:31], v[30:31], s[14:15]
	v_add_f64 v[36:37], v[52:53], v[36:37]
	v_fma_f64 v[52:53], v[4:5], s[24:25], v[194:195]
	s_delay_alu instid0(VALU_DEP_1) | instskip(SKIP_1) | instid1(VALU_DEP_1)
	v_add_f64 v[50:51], v[52:53], v[50:51]
	v_fma_f64 v[52:53], v[26:27], s[12:13], -v[238:239]
	v_add_f64 v[36:37], v[52:53], v[36:37]
	v_fma_f64 v[52:53], v[28:29], s[12:13], v[242:243]
	s_delay_alu instid0(VALU_DEP_1) | instskip(SKIP_1) | instid1(VALU_DEP_1)
	v_add_f64 v[50:51], v[52:53], v[50:51]
	v_fma_f64 v[52:53], v[253:254], s[28:29], -v[251:252]
	;; [unrolled: 5-line block ×3, first 2 shown]
	v_add_f64 v[50:51], v[50:51], v[36:37]
	v_mul_f64 v[36:37], v[60:61], s[14:15]
	s_delay_alu instid0(VALU_DEP_1) | instskip(SKIP_1) | instid1(VALU_DEP_2)
	v_fma_f64 v[54:55], v[62:63], s[22:23], v[36:37]
	v_fma_f64 v[36:37], v[62:63], s[22:23], -v[36:37]
	v_add_f64 v[52:53], v[54:55], v[52:53]
	scratch_load_b64 v[54:55], off, off offset:400 ; 8-byte Folded Reload
	s_waitcnt vmcnt(0)
	v_add_f64 v[22:23], v[22:23], v[54:55]
	v_fma_f64 v[54:55], v[249:250], s[26:27], -v[58:59]
	scratch_load_b64 v[58:59], off, off offset:392 ; 8-byte Folded Reload
	s_waitcnt vmcnt(0)
	v_add_f64 v[54:55], v[54:55], v[58:59]
	v_fma_f64 v[58:59], v[244:245], s[24:25], v[192:193]
	s_delay_alu instid0(VALU_DEP_1) | instskip(SKIP_1) | instid1(VALU_DEP_1)
	v_add_f64 v[22:23], v[58:59], v[22:23]
	v_fma_f64 v[58:59], v[4:5], s[24:25], -v[194:195]
	v_add_f64 v[54:55], v[58:59], v[54:55]
	v_fma_f64 v[58:59], v[26:27], s[12:13], v[238:239]
	s_delay_alu instid0(VALU_DEP_1) | instskip(SKIP_1) | instid1(VALU_DEP_1)
	v_add_f64 v[22:23], v[58:59], v[22:23]
	v_fma_f64 v[58:59], v[28:29], s[12:13], -v[242:243]
	;; [unrolled: 5-line block ×3, first 2 shown]
	v_add_f64 v[54:55], v[58:59], v[54:55]
	v_fma_f64 v[58:59], v[56:57], s[22:23], v[66:67]
	s_delay_alu instid0(VALU_DEP_2)
	v_add_f64 v[194:195], v[36:37], v[54:55]
	s_clause 0x1
	scratch_load_b64 v[36:37], off, off offset:384
	scratch_load_b64 v[54:55], off, off offset:376
	v_add_f64 v[192:193], v[58:59], v[22:23]
	v_mul_f64 v[22:23], v[0:1], s[36:37]
	v_fma_f64 v[58:59], v[56:57], s[26:27], -v[32:33]
	s_delay_alu instid0(VALU_DEP_2) | instskip(SKIP_2) | instid1(VALU_DEP_2)
	v_fma_f64 v[0:1], v[247:248], s[28:29], -v[22:23]
	v_fma_f64 v[22:23], v[247:248], s[28:29], v[22:23]
	s_waitcnt vmcnt(1)
	v_add_f64 v[0:1], v[0:1], v[36:37]
	v_mul_f64 v[36:37], v[2:3], s[36:37]
	s_delay_alu instid0(VALU_DEP_1) | instskip(SKIP_2) | instid1(VALU_DEP_2)
	v_fma_f64 v[2:3], v[249:250], s[28:29], v[36:37]
	v_fma_f64 v[36:37], v[249:250], s[28:29], -v[36:37]
	s_waitcnt vmcnt(0)
	v_add_f64 v[2:3], v[2:3], v[54:55]
	v_fma_f64 v[54:55], v[244:245], s[16:17], -v[18:19]
	v_fma_f64 v[18:19], v[244:245], s[16:17], v[18:19]
	s_delay_alu instid0(VALU_DEP_2)
	v_add_f64 v[0:1], v[54:55], v[0:1]
	v_fma_f64 v[54:55], v[4:5], s[16:17], v[20:21]
	v_fma_f64 v[4:5], v[4:5], s[16:17], -v[20:21]
	scratch_load_b64 v[20:21], off, off offset:360 ; 8-byte Folded Reload
	v_add_f64 v[2:3], v[54:55], v[2:3]
	v_fma_f64 v[54:55], v[26:27], s[24:25], -v[38:39]
	v_fma_f64 v[26:27], v[26:27], s[24:25], v[38:39]
	s_delay_alu instid0(VALU_DEP_2) | instskip(SKIP_2) | instid1(VALU_DEP_2)
	v_add_f64 v[0:1], v[54:55], v[0:1]
	v_fma_f64 v[54:55], v[28:29], s[24:25], v[40:41]
	v_fma_f64 v[28:29], v[28:29], s[24:25], -v[40:41]
	v_add_f64 v[2:3], v[54:55], v[2:3]
	v_fma_f64 v[54:55], v[253:254], s[22:23], -v[24:25]
	s_delay_alu instid0(VALU_DEP_1) | instskip(SKIP_1) | instid1(VALU_DEP_2)
	v_add_f64 v[0:1], v[54:55], v[0:1]
	v_fma_f64 v[54:55], v[240:241], s[22:23], v[30:31]
	v_add_f64 v[0:1], v[58:59], v[0:1]
	s_delay_alu instid0(VALU_DEP_2) | instskip(SKIP_1) | instid1(VALU_DEP_1)
	v_add_f64 v[2:3], v[54:55], v[2:3]
	v_mul_f64 v[54:55], v[60:61], s[34:35]
	v_fma_f64 v[58:59], v[62:63], s[26:27], v[54:55]
	s_delay_alu instid0(VALU_DEP_1)
	v_add_f64 v[2:3], v[58:59], v[2:3]
	s_waitcnt vmcnt(0)
	v_add_f64 v[20:21], v[22:23], v[20:21]
	scratch_load_b64 v[22:23], off, off offset:368 ; 8-byte Folded Reload
	v_add_f64 v[18:19], v[18:19], v[20:21]
	v_fma_f64 v[20:21], v[253:254], s[22:23], v[24:25]
	v_fma_f64 v[24:25], v[56:57], s[26:27], v[32:33]
	s_delay_alu instid0(VALU_DEP_3) | instskip(SKIP_1) | instid1(VALU_DEP_2)
	v_add_f64 v[18:19], v[26:27], v[18:19]
	v_fma_f64 v[26:27], v[62:63], s[26:27], -v[54:55]
	v_add_f64 v[18:19], v[20:21], v[18:19]
	s_delay_alu instid0(VALU_DEP_1) | instskip(SKIP_2) | instid1(VALU_DEP_1)
	v_add_f64 v[18:19], v[24:25], v[18:19]
	s_waitcnt vmcnt(0)
	v_add_f64 v[22:23], v[36:37], v[22:23]
	v_add_f64 v[4:5], v[4:5], v[22:23]
	v_fma_f64 v[22:23], v[240:241], s[22:23], -v[30:31]
	s_delay_alu instid0(VALU_DEP_2) | instskip(NEXT) | instid1(VALU_DEP_1)
	v_add_f64 v[4:5], v[28:29], v[4:5]
	v_add_f64 v[4:5], v[22:23], v[4:5]
	s_delay_alu instid0(VALU_DEP_1)
	v_add_f64 v[20:21], v[26:27], v[4:5]
	s_clause 0x1
	scratch_load_b64 v[4:5], off, off offset:336
	scratch_load_b64 v[22:23], off, off offset:352
	s_waitcnt vmcnt(0)
	v_add_f64 v[4:5], v[4:5], v[22:23]
	scratch_load_b64 v[22:23], off, off offset:344 ; 8-byte Folded Reload
	v_add_f64 v[4:5], v[4:5], v[198:199]
	s_delay_alu instid0(VALU_DEP_1) | instskip(NEXT) | instid1(VALU_DEP_1)
	v_add_f64 v[4:5], v[4:5], v[202:203]
	v_add_f64 v[4:5], v[4:5], v[206:207]
	s_delay_alu instid0(VALU_DEP_1) | instskip(NEXT) | instid1(VALU_DEP_1)
	v_add_f64 v[4:5], v[4:5], v[210:211]
	;; [unrolled: 3-line block ×3, first 2 shown]
	v_add_f64 v[4:5], v[4:5], v[222:223]
	s_delay_alu instid0(VALU_DEP_1) | instskip(SKIP_2) | instid1(VALU_DEP_2)
	v_add_f64 v[4:5], v[4:5], v[226:227]
	s_waitcnt vmcnt(0)
	v_add_f64 v[22:23], v[22:23], v[196:197]
	v_add_f64 v[4:5], v[4:5], v[230:231]
	s_delay_alu instid0(VALU_DEP_2) | instskip(NEXT) | instid1(VALU_DEP_1)
	v_add_f64 v[22:23], v[22:23], v[200:201]
	v_add_f64 v[22:23], v[22:23], v[204:205]
	s_delay_alu instid0(VALU_DEP_1) | instskip(NEXT) | instid1(VALU_DEP_1)
	v_add_f64 v[22:23], v[22:23], v[208:209]
	v_add_f64 v[22:23], v[22:23], v[212:213]
	s_delay_alu instid0(VALU_DEP_1) | instskip(NEXT) | instid1(VALU_DEP_1)
	;; [unrolled: 3-line block ×3, first 2 shown]
	v_add_f64 v[22:23], v[22:23], v[224:225]
	v_add_f64 v[22:23], v[22:23], v[228:229]
	s_delay_alu instid0(VALU_DEP_1) | instskip(SKIP_1) | instid1(VALU_DEP_2)
	v_add_f64 v[24:25], v[22:23], v[232:233]
	v_add_f64 v[22:23], v[4:5], v[236:237]
	;; [unrolled: 1-line block ×3, first 2 shown]
	ds_store_b128 v255, v[42:45] offset:3744
	ds_store_b128 v255, v[10:13] offset:5616
	;; [unrolled: 1-line block ×12, first 2 shown]
	ds_store_b128 v255, v[22:25]
	s_waitcnt lgkmcnt(0)
	s_waitcnt_vscnt null, 0x0
	s_barrier
	buffer_gl0_inv
	scratch_load_b64 v[0:1], off, off offset:328 ; 8-byte Folded Reload
	v_add_co_u32 v16, s0, 0x5f10, v34
	s_delay_alu instid0(VALU_DEP_1)
	v_add_co_ci_u32_e64 v17, s0, 0, v35, s0
	s_waitcnt vmcnt(0)
	s_clause 0x1
	global_load_b128 v[0:3], v[0:1], off offset:3856
	global_load_b128 v[4:7], v[16:17], off offset:1872
	ds_load_b128 v[8:11], v255
	ds_load_b128 v[12:15], v255 offset:1872
	s_waitcnt vmcnt(1) lgkmcnt(1)
	v_mul_f64 v[18:19], v[10:11], v[2:3]
	v_mul_f64 v[2:3], v[8:9], v[2:3]
	s_delay_alu instid0(VALU_DEP_2) | instskip(NEXT) | instid1(VALU_DEP_2)
	v_fma_f64 v[188:189], v[8:9], v[0:1], -v[18:19]
	v_fma_f64 v[190:191], v[10:11], v[0:1], v[2:3]
	s_waitcnt vmcnt(0) lgkmcnt(0)
	v_mul_f64 v[0:1], v[14:15], v[6:7]
	v_mul_f64 v[2:3], v[12:13], v[6:7]
	v_add_co_u32 v18, s0, 0x7000, v34
	s_delay_alu instid0(VALU_DEP_1) | instskip(SKIP_1) | instid1(VALU_DEP_1)
	v_add_co_ci_u32_e64 v19, s0, 0, v35, s0
	v_add_co_u32 v20, s0, 0x8000, v34
	v_add_co_ci_u32_e64 v21, s0, 0, v35, s0
	v_add_co_u32 v28, s0, 0x9000, v34
	s_delay_alu instid0(VALU_DEP_1) | instskip(SKIP_1) | instid1(VALU_DEP_1)
	v_add_co_ci_u32_e64 v29, s0, 0, v35, s0
	v_add_co_u32 v32, s0, 0xa000, v34
	v_add_co_ci_u32_e64 v33, s0, 0, v35, s0
	v_fma_f64 v[192:193], v[12:13], v[4:5], -v[0:1]
	v_fma_f64 v[194:195], v[14:15], v[4:5], v[2:3]
	s_clause 0x1
	global_load_b128 v[0:3], v[16:17], off offset:3744
	global_load_b128 v[4:7], v[18:19], off offset:1280
	ds_load_b128 v[8:11], v255 offset:3744
	ds_load_b128 v[12:15], v255 offset:5616
	s_waitcnt vmcnt(1) lgkmcnt(1)
	v_mul_f64 v[16:17], v[10:11], v[2:3]
	v_mul_f64 v[2:3], v[8:9], v[2:3]
	s_delay_alu instid0(VALU_DEP_2) | instskip(NEXT) | instid1(VALU_DEP_2)
	v_fma_f64 v[196:197], v[8:9], v[0:1], -v[16:17]
	v_fma_f64 v[198:199], v[10:11], v[0:1], v[2:3]
	s_waitcnt vmcnt(0) lgkmcnt(0)
	v_mul_f64 v[0:1], v[14:15], v[6:7]
	v_mul_f64 v[2:3], v[12:13], v[6:7]
	s_delay_alu instid0(VALU_DEP_2) | instskip(NEXT) | instid1(VALU_DEP_2)
	v_fma_f64 v[0:1], v[12:13], v[4:5], -v[0:1]
	v_fma_f64 v[2:3], v[14:15], v[4:5], v[2:3]
	s_clause 0x1
	global_load_b128 v[4:7], v[18:19], off offset:3152
	global_load_b128 v[8:11], v[20:21], off offset:928
	ds_load_b128 v[12:15], v255 offset:7488
	ds_load_b128 v[16:19], v255 offset:9360
	s_waitcnt vmcnt(1) lgkmcnt(1)
	v_mul_f64 v[22:23], v[14:15], v[6:7]
	v_mul_f64 v[6:7], v[12:13], v[6:7]
	s_delay_alu instid0(VALU_DEP_2) | instskip(NEXT) | instid1(VALU_DEP_2)
	v_fma_f64 v[12:13], v[12:13], v[4:5], -v[22:23]
	v_fma_f64 v[14:15], v[14:15], v[4:5], v[6:7]
	s_waitcnt vmcnt(0) lgkmcnt(0)
	v_mul_f64 v[4:5], v[18:19], v[10:11]
	v_mul_f64 v[6:7], v[16:17], v[10:11]
	s_delay_alu instid0(VALU_DEP_2) | instskip(NEXT) | instid1(VALU_DEP_2)
	;; [unrolled: 17-line block ×4, first 2 shown]
	v_fma_f64 v[16:17], v[36:37], v[24:25], -v[16:17]
	v_fma_f64 v[18:19], v[38:39], v[24:25], v[18:19]
	s_clause 0x1
	global_load_b128 v[24:27], v[32:33], off offset:2096
	global_load_b128 v[36:39], v[32:33], off offset:3968
	ds_load_b128 v[40:43], v255 offset:18720
	ds_load_b128 v[44:47], v255 offset:20592
	s_waitcnt vmcnt(1) lgkmcnt(1)
	v_mul_f64 v[32:33], v[42:43], v[26:27]
	v_mul_f64 v[26:27], v[40:41], v[26:27]
	s_delay_alu instid0(VALU_DEP_2) | instskip(SKIP_1) | instid1(VALU_DEP_3)
	v_fma_f64 v[40:41], v[40:41], v[24:25], -v[32:33]
	v_add_co_u32 v32, s0, 0xb000, v34
	v_fma_f64 v[42:43], v[42:43], v[24:25], v[26:27]
	s_waitcnt vmcnt(0) lgkmcnt(0)
	v_mul_f64 v[24:25], v[46:47], v[38:39]
	v_mul_f64 v[26:27], v[44:45], v[38:39]
	v_add_co_ci_u32_e64 v33, s0, 0, v35, s0
	global_load_b128 v[32:35], v[32:33], off offset:1744
	v_fma_f64 v[24:25], v[44:45], v[36:37], -v[24:25]
	v_fma_f64 v[26:27], v[46:47], v[36:37], v[26:27]
	ds_load_b128 v[36:39], v255 offset:22464
	s_waitcnt vmcnt(0) lgkmcnt(0)
	v_mul_f64 v[44:45], v[38:39], v[34:35]
	v_mul_f64 v[46:47], v[36:37], v[34:35]
	s_delay_alu instid0(VALU_DEP_2) | instskip(NEXT) | instid1(VALU_DEP_2)
	v_fma_f64 v[34:35], v[36:37], v[32:33], -v[44:45]
	v_fma_f64 v[36:37], v[38:39], v[32:33], v[46:47]
	ds_store_b128 v255, v[188:191]
	ds_store_b128 v255, v[192:195] offset:1872
	ds_store_b128 v255, v[196:199] offset:3744
	;; [unrolled: 1-line block ×12, first 2 shown]
	s_waitcnt lgkmcnt(0)
	s_barrier
	buffer_gl0_inv
	ds_load_b128 v[188:191], v255
	ds_load_b128 v[192:195], v255 offset:1872
	ds_load_b128 v[196:199], v255 offset:3744
	;; [unrolled: 1-line block ×9, first 2 shown]
	s_waitcnt lgkmcnt(8)
	v_add_f64 v[0:1], v[188:189], v[192:193]
	v_add_f64 v[2:3], v[190:191], v[194:195]
	s_waitcnt lgkmcnt(1)
	v_add_f64 v[44:45], v[210:211], v[10:11]
	v_add_f64 v[46:47], v[210:211], -v[10:11]
	s_waitcnt lgkmcnt(0)
	v_add_f64 v[48:49], v[206:207], v[14:15]
	v_add_f64 v[40:41], v[214:215], v[218:219]
	v_add_f64 v[42:43], v[214:215], -v[218:219]
	v_add_f64 v[0:1], v[0:1], v[196:197]
	v_add_f64 v[2:3], v[2:3], v[198:199]
	s_delay_alu instid0(VALU_DEP_2) | instskip(NEXT) | instid1(VALU_DEP_2)
	v_add_f64 v[0:1], v[0:1], v[200:201]
	v_add_f64 v[2:3], v[2:3], v[202:203]
	s_delay_alu instid0(VALU_DEP_2) | instskip(NEXT) | instid1(VALU_DEP_2)
	;; [unrolled: 3-line block ×4, first 2 shown]
	v_add_f64 v[4:5], v[0:1], v[212:213]
	v_add_f64 v[6:7], v[2:3], v[214:215]
	;; [unrolled: 1-line block ×3, first 2 shown]
	v_add_f64 v[2:3], v[212:213], -v[216:217]
	s_delay_alu instid0(VALU_DEP_4) | instskip(NEXT) | instid1(VALU_DEP_4)
	v_add_f64 v[16:17], v[4:5], v[216:217]
	v_add_f64 v[18:19], v[6:7], v[218:219]
	;; [unrolled: 1-line block ×3, first 2 shown]
	v_add_f64 v[6:7], v[208:209], -v[8:9]
	s_delay_alu instid0(VALU_DEP_4) | instskip(NEXT) | instid1(VALU_DEP_4)
	v_add_f64 v[16:17], v[16:17], v[8:9]
	v_add_f64 v[18:19], v[18:19], v[10:11]
	;; [unrolled: 1-line block ×3, first 2 shown]
	v_add_f64 v[10:11], v[204:205], -v[12:13]
	v_add_f64 v[204:205], v[206:207], -v[14:15]
	v_add_f64 v[24:25], v[16:17], v[12:13]
	v_add_f64 v[26:27], v[18:19], v[14:15]
	ds_load_b128 v[16:19], v255 offset:18720
	ds_load_b128 v[20:23], v255 offset:20592
	s_waitcnt lgkmcnt(1)
	v_add_f64 v[12:13], v[200:201], v[16:17]
	v_add_f64 v[206:207], v[202:203], v[18:19]
	v_add_f64 v[14:15], v[200:201], -v[16:17]
	v_add_f64 v[200:201], v[202:203], -v[18:19]
	s_waitcnt lgkmcnt(0)
	v_add_f64 v[202:203], v[198:199], v[22:23]
	v_add_f64 v[208:209], v[198:199], -v[22:23]
	v_add_f64 v[24:25], v[24:25], v[16:17]
	v_add_f64 v[26:27], v[26:27], v[18:19]
	;; [unrolled: 1-line block ×3, first 2 shown]
	v_add_f64 v[18:19], v[196:197], -v[20:21]
	s_delay_alu instid0(VALU_DEP_4) | instskip(NEXT) | instid1(VALU_DEP_4)
	v_add_f64 v[24:25], v[24:25], v[20:21]
	v_add_f64 v[26:27], v[26:27], v[22:23]
	ds_load_b128 v[20:23], v255 offset:22464
	s_waitcnt lgkmcnt(0)
	s_barrier
	buffer_gl0_inv
	v_add_f64 v[28:29], v[194:195], -v[22:23]
	v_add_f64 v[30:31], v[192:193], v[20:21]
	v_add_f64 v[34:35], v[192:193], -v[20:21]
	v_add_f64 v[32:33], v[194:195], v[22:23]
	v_add_f64 v[192:193], v[24:25], v[20:21]
	v_add_f64 v[194:195], v[26:27], v[22:23]
	v_mul_f64 v[24:25], v[28:29], s[20:21]
	v_mul_f64 v[20:21], v[28:29], s[30:31]
	;; [unrolled: 1-line block ×9, first 2 shown]
	v_fma_f64 v[54:55], v[30:31], s[26:27], v[24:25]
	v_fma_f64 v[24:25], v[30:31], s[26:27], -v[24:25]
	v_fma_f64 v[38:39], v[30:31], s[28:29], v[20:21]
	v_fma_f64 v[20:21], v[30:31], s[28:29], -v[20:21]
	;; [unrolled: 2-line block ×6, first 2 shown]
	v_mul_f64 v[22:23], v[32:33], s[28:29]
	v_mul_f64 v[30:31], v[32:33], s[24:25]
	;; [unrolled: 1-line block ×3, first 2 shown]
	v_fma_f64 v[96:97], v[34:35], s[34:35], v[62:63]
	v_fma_f64 v[62:63], v[34:35], s[20:21], v[62:63]
	v_fma_f64 v[98:99], v[34:35], s[40:41], v[64:65]
	v_fma_f64 v[64:65], v[34:35], s[14:15], v[64:65]
	v_fma_f64 v[196:197], v[34:35], s[38:39], v[66:67]
	v_fma_f64 v[66:67], v[34:35], s[10:11], v[66:67]
	v_add_f64 v[222:223], v[188:189], v[54:55]
	v_add_f64 v[224:225], v[188:189], v[24:25]
	v_mul_f64 v[24:25], v[208:209], s[18:19]
	v_add_f64 v[20:21], v[188:189], v[20:21]
	v_add_f64 v[218:219], v[188:189], v[52:53]
	v_add_f64 v[56:57], v[188:189], v[56:57]
	v_add_f64 v[228:229], v[188:189], v[26:27]
	v_add_f64 v[58:59], v[188:189], v[58:59]
	v_add_f64 v[216:217], v[188:189], v[36:37]
	v_add_f64 v[212:213], v[188:189], v[60:61]
	v_fma_f64 v[92:93], v[34:35], s[36:37], v[22:23]
	v_fma_f64 v[22:23], v[34:35], s[30:31], v[22:23]
	;; [unrolled: 1-line block ×6, first 2 shown]
	v_add_f64 v[34:35], v[188:189], v[38:39]
	v_add_f64 v[230:231], v[190:191], v[196:197]
	;; [unrolled: 1-line block ×4, first 2 shown]
	v_mul_f64 v[98:99], v[208:209], s[14:15]
	v_add_f64 v[96:97], v[190:191], v[96:97]
	v_add_f64 v[62:63], v[190:191], v[62:63]
	v_add_f64 v[64:65], v[190:191], v[64:65]
	v_fma_f64 v[26:27], v[16:17], s[24:25], v[24:25]
	v_add_f64 v[38:39], v[190:191], v[92:93]
	v_add_f64 v[92:93], v[188:189], v[50:51]
	;; [unrolled: 1-line block ×9, first 2 shown]
	v_mul_f64 v[26:27], v[202:203], s[24:25]
	s_delay_alu instid0(VALU_DEP_1) | instskip(NEXT) | instid1(VALU_DEP_1)
	v_fma_f64 v[28:29], v[18:19], s[42:43], v[26:27]
	v_add_f64 v[32:33], v[28:29], v[38:39]
	v_mul_f64 v[28:29], v[200:201], s[20:21]
	s_delay_alu instid0(VALU_DEP_1) | instskip(NEXT) | instid1(VALU_DEP_1)
	v_fma_f64 v[34:35], v[12:13], s[26:27], v[28:29]
	v_add_f64 v[34:35], v[34:35], v[30:31]
	;; [unrolled: 4-line block ×9, first 2 shown]
	v_fma_f64 v[52:53], v[16:17], s[22:23], v[98:99]
	v_fma_f64 v[98:99], v[16:17], s[22:23], -v[98:99]
	s_delay_alu instid0(VALU_DEP_2) | instskip(SKIP_1) | instid1(VALU_DEP_3)
	v_add_f64 v[52:53], v[52:53], v[92:93]
	v_mul_f64 v[92:93], v[202:203], s[22:23]
	v_add_f64 v[98:99], v[98:99], v[218:219]
	v_mul_f64 v[218:219], v[202:203], s[12:13]
	s_delay_alu instid0(VALU_DEP_3) | instskip(SKIP_1) | instid1(VALU_DEP_2)
	v_fma_f64 v[54:55], v[18:19], s[40:41], v[92:93]
	v_fma_f64 v[92:93], v[18:19], s[14:15], v[92:93]
	v_add_f64 v[54:55], v[54:55], v[94:95]
	v_mul_f64 v[94:95], v[200:201], s[8:9]
	s_delay_alu instid0(VALU_DEP_3) | instskip(SKIP_2) | instid1(VALU_DEP_4)
	v_add_f64 v[92:93], v[92:93], v[220:221]
	v_fma_f64 v[220:221], v[18:19], s[44:45], v[218:219]
	v_fma_f64 v[218:219], v[18:19], s[8:9], v[218:219]
	;; [unrolled: 1-line block ×3, first 2 shown]
	v_fma_f64 v[94:95], v[12:13], s[12:13], -v[94:95]
	s_delay_alu instid0(VALU_DEP_4)
	v_add_f64 v[96:97], v[220:221], v[96:97]
	v_mul_f64 v[220:221], v[200:201], s[40:41]
	v_add_f64 v[62:63], v[218:219], v[62:63]
	v_add_f64 v[52:53], v[190:191], v[52:53]
	v_mul_f64 v[190:191], v[206:207], s[12:13]
	v_add_f64 v[94:95], v[94:95], v[98:99]
	v_fma_f64 v[218:219], v[12:13], s[22:23], -v[220:221]
	s_delay_alu instid0(VALU_DEP_3) | instskip(SKIP_1) | instid1(VALU_DEP_2)
	v_fma_f64 v[232:233], v[14:15], s[44:45], v[190:191]
	v_fma_f64 v[98:99], v[14:15], s[8:9], v[190:191]
	v_add_f64 v[54:55], v[232:233], v[54:55]
	v_mul_f64 v[232:233], v[204:205], s[38:39]
	s_delay_alu instid0(VALU_DEP_3) | instskip(NEXT) | instid1(VALU_DEP_2)
	v_add_f64 v[92:93], v[98:99], v[92:93]
	v_fma_f64 v[234:235], v[8:9], s[16:17], v[232:233]
	v_fma_f64 v[98:99], v[8:9], s[16:17], -v[232:233]
	s_delay_alu instid0(VALU_DEP_2) | instskip(SKIP_1) | instid1(VALU_DEP_3)
	v_add_f64 v[52:53], v[234:235], v[52:53]
	v_mul_f64 v[234:235], v[48:49], s[16:17]
	v_add_f64 v[94:95], v[98:99], v[94:95]
	s_delay_alu instid0(VALU_DEP_2) | instskip(SKIP_1) | instid1(VALU_DEP_2)
	v_fma_f64 v[236:237], v[10:11], s[10:11], v[234:235]
	v_fma_f64 v[98:99], v[10:11], s[38:39], v[234:235]
	v_add_f64 v[54:55], v[236:237], v[54:55]
	v_mul_f64 v[236:237], v[46:47], s[34:35]
	s_delay_alu instid0(VALU_DEP_3) | instskip(NEXT) | instid1(VALU_DEP_2)
	v_add_f64 v[92:93], v[98:99], v[92:93]
	v_fma_f64 v[238:239], v[4:5], s[26:27], v[236:237]
	v_fma_f64 v[98:99], v[4:5], s[26:27], -v[236:237]
	s_delay_alu instid0(VALU_DEP_2) | instskip(SKIP_1) | instid1(VALU_DEP_3)
	v_add_f64 v[52:53], v[238:239], v[52:53]
	v_mul_f64 v[238:239], v[44:45], s[26:27]
	v_add_f64 v[94:95], v[98:99], v[94:95]
	s_delay_alu instid0(VALU_DEP_2) | instskip(SKIP_1) | instid1(VALU_DEP_2)
	v_fma_f64 v[240:241], v[6:7], s[20:21], v[238:239]
	v_fma_f64 v[98:99], v[6:7], s[34:35], v[238:239]
	v_add_f64 v[54:55], v[240:241], v[54:55]
	v_mul_f64 v[240:241], v[42:43], s[36:37]
	s_delay_alu instid0(VALU_DEP_3) | instskip(NEXT) | instid1(VALU_DEP_2)
	v_add_f64 v[98:99], v[98:99], v[92:93]
	v_fma_f64 v[242:243], v[0:1], s[28:29], v[240:241]
	v_fma_f64 v[92:93], v[0:1], s[28:29], -v[240:241]
	s_delay_alu instid0(VALU_DEP_2) | instskip(SKIP_1) | instid1(VALU_DEP_3)
	v_add_f64 v[52:53], v[242:243], v[52:53]
	v_mul_f64 v[242:243], v[40:41], s[28:29]
	v_add_f64 v[92:93], v[92:93], v[94:95]
	s_delay_alu instid0(VALU_DEP_2) | instskip(SKIP_2) | instid1(VALU_DEP_3)
	v_fma_f64 v[190:191], v[2:3], s[36:37], v[242:243]
	v_fma_f64 v[244:245], v[2:3], s[30:31], v[242:243]
	v_mul_f64 v[242:243], v[42:43], s[10:11]
	v_add_f64 v[94:95], v[190:191], v[98:99]
	v_mul_f64 v[190:191], v[208:209], s[8:9]
	s_delay_alu instid0(VALU_DEP_4) | instskip(SKIP_1) | instid1(VALU_DEP_3)
	v_add_f64 v[54:55], v[244:245], v[54:55]
	v_mul_f64 v[244:245], v[40:41], s[16:17]
	v_fma_f64 v[98:99], v[16:17], s[12:13], v[190:191]
	v_fma_f64 v[190:191], v[16:17], s[12:13], -v[190:191]
	s_delay_alu instid0(VALU_DEP_2) | instskip(SKIP_1) | instid1(VALU_DEP_3)
	v_add_f64 v[98:99], v[98:99], v[222:223]
	v_fma_f64 v[222:223], v[12:13], s[22:23], v[220:221]
	v_add_f64 v[190:191], v[190:191], v[224:225]
	v_fma_f64 v[220:221], v[2:3], s[10:11], v[244:245]
	s_delay_alu instid0(VALU_DEP_3) | instskip(SKIP_1) | instid1(VALU_DEP_4)
	v_add_f64 v[98:99], v[222:223], v[98:99]
	v_mul_f64 v[222:223], v[206:207], s[22:23]
	v_add_f64 v[190:191], v[218:219], v[190:191]
	s_delay_alu instid0(VALU_DEP_2) | instskip(SKIP_1) | instid1(VALU_DEP_2)
	v_fma_f64 v[232:233], v[14:15], s[14:15], v[222:223]
	v_fma_f64 v[218:219], v[14:15], s[40:41], v[222:223]
	v_add_f64 v[96:97], v[232:233], v[96:97]
	v_mul_f64 v[232:233], v[204:205], s[36:37]
	s_delay_alu instid0(VALU_DEP_3) | instskip(NEXT) | instid1(VALU_DEP_2)
	v_add_f64 v[62:63], v[218:219], v[62:63]
	v_fma_f64 v[234:235], v[8:9], s[28:29], v[232:233]
	v_fma_f64 v[218:219], v[8:9], s[28:29], -v[232:233]
	v_mul_f64 v[232:233], v[206:207], s[28:29]
	s_delay_alu instid0(VALU_DEP_3) | instskip(SKIP_1) | instid1(VALU_DEP_4)
	v_add_f64 v[98:99], v[234:235], v[98:99]
	v_mul_f64 v[234:235], v[48:49], s[28:29]
	v_add_f64 v[190:191], v[218:219], v[190:191]
	s_delay_alu instid0(VALU_DEP_2) | instskip(SKIP_2) | instid1(VALU_DEP_3)
	v_fma_f64 v[236:237], v[10:11], s[30:31], v[234:235]
	v_fma_f64 v[218:219], v[10:11], s[36:37], v[234:235]
	v_mul_f64 v[234:235], v[204:205], s[20:21]
	v_add_f64 v[96:97], v[236:237], v[96:97]
	v_mul_f64 v[236:237], v[46:47], s[18:19]
	s_delay_alu instid0(VALU_DEP_4) | instskip(NEXT) | instid1(VALU_DEP_2)
	v_add_f64 v[62:63], v[218:219], v[62:63]
	v_fma_f64 v[238:239], v[4:5], s[24:25], v[236:237]
	v_fma_f64 v[218:219], v[4:5], s[24:25], -v[236:237]
	v_mul_f64 v[236:237], v[48:49], s[26:27]
	s_delay_alu instid0(VALU_DEP_3) | instskip(SKIP_1) | instid1(VALU_DEP_4)
	v_add_f64 v[98:99], v[238:239], v[98:99]
	v_mul_f64 v[238:239], v[44:45], s[24:25]
	v_add_f64 v[190:191], v[218:219], v[190:191]
	s_delay_alu instid0(VALU_DEP_2) | instskip(SKIP_2) | instid1(VALU_DEP_3)
	v_fma_f64 v[218:219], v[6:7], s[18:19], v[238:239]
	v_fma_f64 v[240:241], v[6:7], s[42:43], v[238:239]
	v_mul_f64 v[238:239], v[46:47], s[44:45]
	v_add_f64 v[62:63], v[218:219], v[62:63]
	v_fma_f64 v[218:219], v[0:1], s[16:17], -v[242:243]
	s_delay_alu instid0(VALU_DEP_4)
	v_add_f64 v[240:241], v[240:241], v[96:97]
	v_fma_f64 v[96:97], v[0:1], s[16:17], v[242:243]
	v_mul_f64 v[242:243], v[42:43], s[42:43]
	v_add_f64 v[220:221], v[220:221], v[62:63]
	v_mul_f64 v[62:63], v[208:209], s[38:39]
	v_add_f64 v[218:219], v[218:219], v[190:191]
	v_add_f64 v[96:97], v[96:97], v[98:99]
	v_fma_f64 v[98:99], v[2:3], s[38:39], v[244:245]
	s_delay_alu instid0(VALU_DEP_4) | instskip(SKIP_1) | instid1(VALU_DEP_3)
	v_fma_f64 v[190:191], v[16:17], s[16:17], v[62:63]
	v_fma_f64 v[62:63], v[16:17], s[16:17], -v[62:63]
	v_add_f64 v[98:99], v[98:99], v[240:241]
	v_mul_f64 v[240:241], v[44:45], s[12:13]
	s_delay_alu instid0(VALU_DEP_4) | instskip(SKIP_2) | instid1(VALU_DEP_2)
	v_add_f64 v[56:57], v[190:191], v[56:57]
	v_mul_f64 v[190:191], v[202:203], s[16:17]
	v_add_f64 v[62:63], v[62:63], v[228:229]
	v_fma_f64 v[222:223], v[18:19], s[10:11], v[190:191]
	v_fma_f64 v[190:191], v[18:19], s[38:39], v[190:191]
	s_delay_alu instid0(VALU_DEP_2) | instskip(SKIP_1) | instid1(VALU_DEP_3)
	v_add_f64 v[222:223], v[222:223], v[226:227]
	v_mul_f64 v[226:227], v[200:201], s[36:37]
	v_add_f64 v[64:65], v[190:191], v[64:65]
	s_delay_alu instid0(VALU_DEP_2) | instskip(SKIP_1) | instid1(VALU_DEP_2)
	v_fma_f64 v[224:225], v[12:13], s[28:29], v[226:227]
	v_fma_f64 v[190:191], v[12:13], s[28:29], -v[226:227]
	v_add_f64 v[56:57], v[224:225], v[56:57]
	v_fma_f64 v[224:225], v[14:15], s[30:31], v[232:233]
	s_delay_alu instid0(VALU_DEP_3) | instskip(SKIP_1) | instid1(VALU_DEP_3)
	v_add_f64 v[62:63], v[190:191], v[62:63]
	v_fma_f64 v[190:191], v[14:15], s[36:37], v[232:233]
	v_add_f64 v[222:223], v[224:225], v[222:223]
	v_fma_f64 v[224:225], v[8:9], s[26:27], v[234:235]
	s_delay_alu instid0(VALU_DEP_3) | instskip(SKIP_2) | instid1(VALU_DEP_4)
	v_add_f64 v[64:65], v[190:191], v[64:65]
	v_fma_f64 v[190:191], v[8:9], s[26:27], -v[234:235]
	v_mul_f64 v[234:235], v[206:207], s[24:25]
	v_add_f64 v[56:57], v[224:225], v[56:57]
	v_fma_f64 v[224:225], v[10:11], s[34:35], v[236:237]
	s_delay_alu instid0(VALU_DEP_4) | instskip(SKIP_2) | instid1(VALU_DEP_4)
	v_add_f64 v[62:63], v[190:191], v[62:63]
	v_fma_f64 v[190:191], v[10:11], s[20:21], v[236:237]
	v_mul_f64 v[236:237], v[204:205], s[44:45]
	v_add_f64 v[222:223], v[224:225], v[222:223]
	v_fma_f64 v[224:225], v[4:5], s[12:13], v[238:239]
	s_delay_alu instid0(VALU_DEP_4)
	v_add_f64 v[64:65], v[190:191], v[64:65]
	v_fma_f64 v[190:191], v[4:5], s[12:13], -v[238:239]
	v_mul_f64 v[238:239], v[48:49], s[12:13]
	v_mul_f64 v[48:49], v[48:49], s[24:25]
	v_add_f64 v[56:57], v[224:225], v[56:57]
	v_fma_f64 v[224:225], v[6:7], s[8:9], v[240:241]
	v_add_f64 v[62:63], v[190:191], v[62:63]
	v_fma_f64 v[190:191], v[6:7], s[44:45], v[240:241]
	v_mul_f64 v[240:241], v[46:47], s[36:37]
	v_mul_f64 v[46:47], v[46:47], s[14:15]
	v_add_f64 v[224:225], v[224:225], v[222:223]
	v_fma_f64 v[222:223], v[0:1], s[24:25], v[242:243]
	v_add_f64 v[64:65], v[190:191], v[64:65]
	v_fma_f64 v[190:191], v[0:1], s[24:25], -v[242:243]
	v_mul_f64 v[242:243], v[44:45], s[28:29]
	v_mul_f64 v[44:45], v[44:45], s[22:23]
	v_add_f64 v[222:223], v[222:223], v[56:57]
	v_mul_f64 v[56:57], v[40:41], s[24:25]
	v_add_f64 v[226:227], v[190:191], v[62:63]
	v_mul_f64 v[190:191], v[200:201], s[18:19]
	s_delay_alu instid0(VALU_DEP_3) | instskip(SKIP_1) | instid1(VALU_DEP_2)
	v_fma_f64 v[244:245], v[2:3], s[18:19], v[56:57]
	v_fma_f64 v[56:57], v[2:3], s[42:43], v[56:57]
	v_add_f64 v[224:225], v[244:245], v[224:225]
	s_delay_alu instid0(VALU_DEP_2) | instskip(SKIP_2) | instid1(VALU_DEP_2)
	v_add_f64 v[228:229], v[56:57], v[64:65]
	v_mul_f64 v[56:57], v[208:209], s[34:35]
	v_mul_f64 v[244:245], v[42:43], s[14:15]
	v_fma_f64 v[62:63], v[16:17], s[26:27], v[56:57]
	v_fma_f64 v[56:57], v[16:17], s[26:27], -v[56:57]
	s_delay_alu instid0(VALU_DEP_2) | instskip(SKIP_1) | instid1(VALU_DEP_3)
	v_add_f64 v[58:59], v[62:63], v[58:59]
	v_mul_f64 v[62:63], v[202:203], s[26:27]
	v_add_f64 v[56:57], v[56:57], v[216:217]
	s_delay_alu instid0(VALU_DEP_2) | instskip(SKIP_1) | instid1(VALU_DEP_2)
	v_fma_f64 v[64:65], v[18:19], s[20:21], v[62:63]
	v_fma_f64 v[62:63], v[18:19], s[34:35], v[62:63]
	v_add_f64 v[64:65], v[64:65], v[230:231]
	v_fma_f64 v[230:231], v[12:13], s[24:25], v[190:191]
	s_delay_alu instid0(VALU_DEP_3) | instskip(NEXT) | instid1(VALU_DEP_2)
	v_add_f64 v[62:63], v[62:63], v[214:215]
	v_add_f64 v[58:59], v[230:231], v[58:59]
	v_fma_f64 v[230:231], v[14:15], s[42:43], v[234:235]
	s_delay_alu instid0(VALU_DEP_1) | instskip(SKIP_1) | instid1(VALU_DEP_1)
	v_add_f64 v[64:65], v[230:231], v[64:65]
	v_fma_f64 v[230:231], v[8:9], s[12:13], v[236:237]
	v_add_f64 v[58:59], v[230:231], v[58:59]
	v_fma_f64 v[230:231], v[10:11], s[8:9], v[238:239]
	s_delay_alu instid0(VALU_DEP_1) | instskip(SKIP_1) | instid1(VALU_DEP_1)
	v_add_f64 v[64:65], v[230:231], v[64:65]
	v_fma_f64 v[230:231], v[4:5], s[28:29], v[240:241]
	;; [unrolled: 5-line block ×3, first 2 shown]
	v_add_f64 v[230:231], v[230:231], v[58:59]
	v_mul_f64 v[58:59], v[40:41], s[22:23]
	s_delay_alu instid0(VALU_DEP_1) | instskip(SKIP_1) | instid1(VALU_DEP_2)
	v_fma_f64 v[232:233], v[2:3], s[40:41], v[58:59]
	v_fma_f64 v[58:59], v[2:3], s[14:15], v[58:59]
	v_add_f64 v[232:233], v[232:233], v[64:65]
	v_fma_f64 v[64:65], v[12:13], s[24:25], -v[190:191]
	v_mul_f64 v[190:191], v[200:201], s[10:11]
	s_delay_alu instid0(VALU_DEP_2) | instskip(SKIP_1) | instid1(VALU_DEP_3)
	v_add_f64 v[56:57], v[64:65], v[56:57]
	v_fma_f64 v[64:65], v[14:15], s[18:19], v[234:235]
	v_fma_f64 v[200:201], v[12:13], s[16:17], v[190:191]
	s_delay_alu instid0(VALU_DEP_2) | instskip(SKIP_1) | instid1(VALU_DEP_1)
	v_add_f64 v[62:63], v[64:65], v[62:63]
	v_fma_f64 v[64:65], v[8:9], s[12:13], -v[236:237]
	v_add_f64 v[56:57], v[64:65], v[56:57]
	v_fma_f64 v[64:65], v[10:11], s[44:45], v[238:239]
	s_delay_alu instid0(VALU_DEP_1) | instskip(SKIP_1) | instid1(VALU_DEP_1)
	v_add_f64 v[62:63], v[64:65], v[62:63]
	v_fma_f64 v[64:65], v[4:5], s[28:29], -v[240:241]
	v_add_f64 v[56:57], v[64:65], v[56:57]
	v_fma_f64 v[64:65], v[6:7], s[36:37], v[242:243]
	s_delay_alu instid0(VALU_DEP_1) | instskip(SKIP_1) | instid1(VALU_DEP_2)
	v_add_f64 v[62:63], v[64:65], v[62:63]
	v_fma_f64 v[64:65], v[0:1], s[22:23], -v[244:245]
	v_add_f64 v[216:217], v[58:59], v[62:63]
	s_delay_alu instid0(VALU_DEP_2) | instskip(SKIP_2) | instid1(VALU_DEP_2)
	v_add_f64 v[214:215], v[64:65], v[56:57]
	v_mul_f64 v[56:57], v[208:209], s[36:37]
	v_mul_f64 v[62:63], v[202:203], s[28:29]
	v_fma_f64 v[58:59], v[16:17], s[28:29], v[56:57]
	s_delay_alu instid0(VALU_DEP_2) | instskip(SKIP_2) | instid1(VALU_DEP_4)
	v_fma_f64 v[64:65], v[18:19], s[30:31], v[62:63]
	v_fma_f64 v[56:57], v[16:17], s[28:29], -v[56:57]
	v_fma_f64 v[16:17], v[16:17], s[24:25], -v[24:25]
	v_add_f64 v[58:59], v[58:59], v[212:213]
	s_delay_alu instid0(VALU_DEP_4) | instskip(NEXT) | instid1(VALU_DEP_4)
	v_add_f64 v[64:65], v[64:65], v[210:211]
	v_add_f64 v[56:57], v[56:57], v[188:189]
	s_delay_alu instid0(VALU_DEP_4) | instskip(NEXT) | instid1(VALU_DEP_4)
	v_add_f64 v[16:17], v[16:17], v[20:21]
	v_add_f64 v[58:59], v[200:201], v[58:59]
	v_mul_f64 v[200:201], v[206:207], s[16:17]
	v_mul_f64 v[206:207], v[40:41], s[26:27]
	s_delay_alu instid0(VALU_DEP_2) | instskip(NEXT) | instid1(VALU_DEP_1)
	v_fma_f64 v[202:203], v[14:15], s[38:39], v[200:201]
	v_add_f64 v[64:65], v[202:203], v[64:65]
	v_mul_f64 v[202:203], v[204:205], s[42:43]
	s_delay_alu instid0(VALU_DEP_1) | instskip(NEXT) | instid1(VALU_DEP_1)
	v_fma_f64 v[204:205], v[8:9], s[24:25], v[202:203]
	v_add_f64 v[58:59], v[204:205], v[58:59]
	v_fma_f64 v[204:205], v[10:11], s[18:19], v[48:49]
	v_fma_f64 v[48:49], v[10:11], s[42:43], v[48:49]
	;; [unrolled: 1-line block ×3, first 2 shown]
	s_delay_alu instid0(VALU_DEP_3) | instskip(SKIP_3) | instid1(VALU_DEP_3)
	v_add_f64 v[64:65], v[204:205], v[64:65]
	v_fma_f64 v[204:205], v[4:5], s[22:23], v[46:47]
	v_fma_f64 v[46:47], v[4:5], s[22:23], -v[46:47]
	v_fma_f64 v[4:5], v[4:5], s[16:17], -v[36:37]
	v_add_f64 v[58:59], v[204:205], v[58:59]
	v_fma_f64 v[204:205], v[6:7], s[40:41], v[44:45]
	v_fma_f64 v[44:45], v[6:7], s[14:15], v[44:45]
	;; [unrolled: 1-line block ×3, first 2 shown]
	s_delay_alu instid0(VALU_DEP_3) | instskip(SKIP_2) | instid1(VALU_DEP_2)
	v_add_f64 v[64:65], v[204:205], v[64:65]
	v_mul_f64 v[204:205], v[42:43], s[34:35]
	v_fma_f64 v[42:43], v[2:3], s[20:21], v[206:207]
	v_fma_f64 v[40:41], v[0:1], s[26:27], v[204:205]
	s_delay_alu instid0(VALU_DEP_2) | instskip(NEXT) | instid1(VALU_DEP_2)
	v_add_f64 v[42:43], v[42:43], v[64:65]
	v_add_f64 v[40:41], v[40:41], v[58:59]
	v_fma_f64 v[58:59], v[18:19], s[36:37], v[62:63]
	v_fma_f64 v[18:19], v[18:19], s[18:19], v[26:27]
	s_delay_alu instid0(VALU_DEP_2) | instskip(SKIP_2) | instid1(VALU_DEP_4)
	v_add_f64 v[50:51], v[58:59], v[50:51]
	v_fma_f64 v[58:59], v[12:13], s[16:17], -v[190:191]
	v_fma_f64 v[12:13], v[12:13], s[26:27], -v[28:29]
	v_add_f64 v[18:19], v[18:19], v[22:23]
	s_delay_alu instid0(VALU_DEP_3) | instskip(SKIP_3) | instid1(VALU_DEP_3)
	v_add_f64 v[56:57], v[58:59], v[56:57]
	v_fma_f64 v[58:59], v[14:15], s[10:11], v[200:201]
	v_fma_f64 v[14:15], v[14:15], s[20:21], v[30:31]
	v_add_f64 v[12:13], v[12:13], v[16:17]
	v_add_f64 v[50:51], v[58:59], v[50:51]
	v_fma_f64 v[58:59], v[8:9], s[24:25], -v[202:203]
	v_fma_f64 v[8:9], v[8:9], s[22:23], -v[32:33]
	v_add_f64 v[14:15], v[14:15], v[18:19]
	s_delay_alu instid0(VALU_DEP_4) | instskip(NEXT) | instid1(VALU_DEP_4)
	v_add_f64 v[48:49], v[48:49], v[50:51]
	v_add_f64 v[56:57], v[58:59], v[56:57]
	s_delay_alu instid0(VALU_DEP_4) | instskip(NEXT) | instid1(VALU_DEP_4)
	v_add_f64 v[8:9], v[8:9], v[12:13]
	v_add_f64 v[10:11], v[10:11], v[14:15]
	v_fma_f64 v[50:51], v[2:3], s[34:35], v[206:207]
	v_fma_f64 v[2:3], v[2:3], s[8:9], v[66:67]
	v_add_f64 v[48:49], v[44:45], v[48:49]
	v_add_f64 v[46:47], v[46:47], v[56:57]
	v_fma_f64 v[44:45], v[0:1], s[26:27], -v[204:205]
	v_fma_f64 v[0:1], v[0:1], s[12:13], -v[60:61]
	v_add_f64 v[4:5], v[4:5], v[8:9]
	v_add_f64 v[6:7], v[6:7], v[10:11]
	s_delay_alu instid0(VALU_DEP_4) | instskip(SKIP_1) | instid1(VALU_DEP_4)
	v_add_f64 v[44:45], v[44:45], v[46:47]
	v_add_f64 v[46:47], v[50:51], v[48:49]
	v_add_f64 v[188:189], v[0:1], v[4:5]
	s_delay_alu instid0(VALU_DEP_4)
	v_add_f64 v[190:191], v[2:3], v[6:7]
	ds_store_b128 v246, v[52:55] offset:32
	ds_store_b128 v246, v[96:99] offset:48
	;; [unrolled: 1-line block ×11, first 2 shown]
	ds_store_b128 v246, v[192:195]
	ds_store_b128 v246, v[188:191] offset:192
	s_waitcnt lgkmcnt(0)
	s_barrier
	buffer_gl0_inv
	ds_load_b128 v[204:207], v255
	ds_load_b128 v[200:203], v255 offset:1872
	ds_load_b128 v[236:239], v255 offset:8112
	;; [unrolled: 1-line block ×11, first 2 shown]
	s_and_saveexec_b32 s0, vcc_lo
	s_cbranch_execz .LBB0_11
; %bb.10:
	ds_load_b128 v[188:191], v255 offset:7488
	ds_load_b128 v[180:183], v255 offset:15600
	;; [unrolled: 1-line block ×3, first 2 shown]
.LBB0_11:
	s_or_b32 exec_lo, exec_lo, s0
	s_clause 0x1
	scratch_load_b128 v[30:33], off, off offset:284
	scratch_load_b128 v[38:41], off, off offset:264
	s_waitcnt lgkmcnt(8)
	v_mul_f64 v[8:9], v[86:87], v[222:223]
	s_clause 0x1
	scratch_load_b128 v[34:37], off, off offset:248
	scratch_load_b128 v[42:45], off, off offset:232
	v_mul_f64 v[0:1], v[90:91], v[238:239]
	s_waitcnt lgkmcnt(7)
	v_mul_f64 v[2:3], v[82:83], v[234:235]
	s_mov_b32 s0, 0xe8584caa
	s_mov_b32 s1, 0xbfebb67a
	;; [unrolled: 1-line block ×4, first 2 shown]
	s_waitcnt vmcnt(0) lgkmcnt(0)
	s_barrier
	buffer_gl0_inv
	v_fma_f64 v[12:13], v[84:85], v[220:221], v[8:9]
	v_mul_f64 v[8:9], v[86:87], v[220:221]
	v_fma_f64 v[4:5], v[88:89], v[236:237], v[0:1]
	v_mul_f64 v[0:1], v[90:91], v[236:237]
	;; [unrolled: 2-line block ×3, first 2 shown]
	v_fma_f64 v[14:15], v[84:85], v[222:223], -v[8:9]
	v_mul_f64 v[8:9], v[78:79], v[218:219]
	v_add_f64 v[46:47], v[204:205], v[4:5]
	v_fma_f64 v[0:1], v[88:89], v[238:239], -v[0:1]
	v_fma_f64 v[2:3], v[80:81], v[234:235], -v[2:3]
	s_delay_alu instid0(VALU_DEP_4) | instskip(SKIP_1) | instid1(VALU_DEP_3)
	v_fma_f64 v[16:17], v[76:77], v[216:217], v[8:9]
	v_mul_f64 v[8:9], v[78:79], v[216:217]
	v_add_f64 v[10:11], v[0:1], v[2:3]
	v_add_f64 v[48:49], v[0:1], -v[2:3]
	s_delay_alu instid0(VALU_DEP_3) | instskip(SKIP_1) | instid1(VALU_DEP_4)
	v_fma_f64 v[18:19], v[76:77], v[218:219], -v[8:9]
	v_mul_f64 v[8:9], v[74:75], v[230:231]
	v_fma_f64 v[10:11], v[10:11], -0.5, v[206:207]
	s_delay_alu instid0(VALU_DEP_2) | instskip(SKIP_1) | instid1(VALU_DEP_1)
	v_fma_f64 v[20:21], v[72:73], v[228:229], v[8:9]
	v_mul_f64 v[8:9], v[74:75], v[228:229]
	v_fma_f64 v[22:23], v[72:73], v[230:231], -v[8:9]
	v_mul_f64 v[8:9], v[70:71], v[226:227]
	s_delay_alu instid0(VALU_DEP_1) | instskip(SKIP_1) | instid1(VALU_DEP_1)
	v_fma_f64 v[24:25], v[68:69], v[224:225], v[8:9]
	v_mul_f64 v[8:9], v[70:71], v[224:225]
	v_fma_f64 v[26:27], v[68:69], v[226:227], -v[8:9]
	v_mul_f64 v[8:9], v[32:33], v[214:215]
	s_delay_alu instid0(VALU_DEP_1) | instskip(SKIP_1) | instid1(VALU_DEP_1)
	;; [unrolled: 5-line block ×3, first 2 shown]
	v_fma_f64 v[32:33], v[34:35], v[208:209], v[8:9]
	v_mul_f64 v[8:9], v[36:37], v[208:209]
	v_fma_f64 v[34:35], v[34:35], v[210:211], -v[8:9]
	v_mul_f64 v[8:9], v[40:41], v[182:183]
	s_delay_alu instid0(VALU_DEP_1) | instskip(SKIP_1) | instid1(VALU_DEP_2)
	v_fma_f64 v[36:37], v[38:39], v[180:181], v[8:9]
	v_mul_f64 v[8:9], v[40:41], v[180:181]
	v_add_f64 v[50:51], v[188:189], v[36:37]
	s_delay_alu instid0(VALU_DEP_2) | instskip(SKIP_1) | instid1(VALU_DEP_1)
	v_fma_f64 v[38:39], v[38:39], v[182:183], -v[8:9]
	v_mul_f64 v[8:9], v[44:45], v[186:187]
	v_fma_f64 v[40:41], v[42:43], v[184:185], v[8:9]
	v_mul_f64 v[8:9], v[44:45], v[184:185]
	v_add_f64 v[44:45], v[206:207], v[0:1]
	v_add_f64 v[0:1], v[46:47], v[6:7]
	s_delay_alu instid0(VALU_DEP_4) | instskip(NEXT) | instid1(VALU_DEP_4)
	v_add_f64 v[52:53], v[50:51], v[40:41]
	v_fma_f64 v[42:43], v[42:43], v[186:187], -v[8:9]
	s_delay_alu instid0(VALU_DEP_4) | instskip(SKIP_2) | instid1(VALU_DEP_2)
	v_add_f64 v[2:3], v[44:45], v[2:3]
	v_add_f64 v[44:45], v[4:5], -v[6:7]
	v_add_f64 v[8:9], v[4:5], v[6:7]
	v_fma_f64 v[6:7], v[44:45], s[8:9], v[10:11]
	v_fma_f64 v[10:11], v[44:45], s[0:1], v[10:11]
	scratch_load_b32 v44, off, off offset:304 ; 4-byte Folded Reload
	v_fma_f64 v[8:9], v[8:9], -0.5, v[204:205]
	s_delay_alu instid0(VALU_DEP_1)
	v_fma_f64 v[4:5], v[48:49], s[0:1], v[8:9]
	v_fma_f64 v[8:9], v[48:49], s[8:9], v[8:9]
	v_add_f64 v[48:49], v[192:193], v[28:29]
	s_waitcnt vmcnt(0)
	ds_store_b128 v44, v[0:3]
	ds_store_b128 v44, v[4:7] offset:208
	ds_store_b128 v44, v[8:11] offset:416
	v_add_f64 v[0:1], v[12:13], v[16:17]
	v_add_f64 v[4:5], v[200:201], v[12:13]
	v_add_f64 v[8:9], v[14:15], -v[18:19]
	v_add_f64 v[12:13], v[12:13], -v[16:17]
	s_delay_alu instid0(VALU_DEP_4) | instskip(SKIP_1) | instid1(VALU_DEP_1)
	v_fma_f64 v[6:7], v[0:1], -0.5, v[200:201]
	v_add_f64 v[0:1], v[14:15], v[18:19]
	v_fma_f64 v[10:11], v[0:1], -0.5, v[202:203]
	v_add_f64 v[0:1], v[202:203], v[14:15]
	s_delay_alu instid0(VALU_DEP_1)
	v_add_f64 v[2:3], v[0:1], v[18:19]
	v_add_f64 v[0:1], v[4:5], v[16:17]
	v_fma_f64 v[4:5], v[8:9], s[0:1], v[6:7]
	v_fma_f64 v[8:9], v[8:9], s[8:9], v[6:7]
	;; [unrolled: 1-line block ×4, first 2 shown]
	v_add_f64 v[12:13], v[20:21], v[24:25]
	v_add_f64 v[16:17], v[196:197], v[20:21]
	s_delay_alu instid0(VALU_DEP_2) | instskip(SKIP_1) | instid1(VALU_DEP_1)
	v_fma_f64 v[18:19], v[12:13], -0.5, v[196:197]
	v_add_f64 v[12:13], v[22:23], v[26:27]
	v_fma_f64 v[44:45], v[12:13], -0.5, v[198:199]
	v_add_f64 v[12:13], v[198:199], v[22:23]
	v_add_f64 v[22:23], v[22:23], -v[26:27]
	s_delay_alu instid0(VALU_DEP_2) | instskip(SKIP_2) | instid1(VALU_DEP_4)
	v_add_f64 v[14:15], v[12:13], v[26:27]
	v_add_f64 v[12:13], v[16:17], v[24:25]
	v_add_f64 v[24:25], v[20:21], -v[24:25]
	v_fma_f64 v[16:17], v[22:23], s[0:1], v[18:19]
	v_fma_f64 v[20:21], v[22:23], s[8:9], v[18:19]
	s_delay_alu instid0(VALU_DEP_3) | instskip(SKIP_2) | instid1(VALU_DEP_1)
	v_fma_f64 v[18:19], v[24:25], s[8:9], v[44:45]
	v_fma_f64 v[22:23], v[24:25], s[0:1], v[44:45]
	v_add_f64 v[24:25], v[28:29], v[32:33]
	v_fma_f64 v[44:45], v[24:25], -0.5, v[192:193]
	v_add_f64 v[24:25], v[30:31], v[34:35]
	s_delay_alu instid0(VALU_DEP_1) | instskip(SKIP_2) | instid1(VALU_DEP_2)
	v_fma_f64 v[46:47], v[24:25], -0.5, v[194:195]
	v_add_f64 v[24:25], v[194:195], v[30:31]
	v_add_f64 v[30:31], v[30:31], -v[34:35]
	v_add_f64 v[26:27], v[24:25], v[34:35]
	v_add_f64 v[34:35], v[28:29], -v[32:33]
	v_add_f64 v[24:25], v[48:49], v[32:33]
	s_delay_alu instid0(VALU_DEP_4)
	v_fma_f64 v[28:29], v[30:31], s[0:1], v[44:45]
	v_fma_f64 v[32:33], v[30:31], s[8:9], v[44:45]
	v_add_f64 v[44:45], v[36:37], v[40:41]
	v_add_f64 v[36:37], v[36:37], -v[40:41]
	v_add_f64 v[48:49], v[190:191], v[38:39]
	v_fma_f64 v[30:31], v[34:35], s[8:9], v[46:47]
	v_fma_f64 v[34:35], v[34:35], s[0:1], v[46:47]
	v_add_f64 v[46:47], v[38:39], v[42:43]
	v_add_f64 v[38:39], v[38:39], -v[42:43]
	v_fma_f64 v[44:45], v[44:45], -0.5, v[188:189]
	v_add_f64 v[54:55], v[48:49], v[42:43]
	s_delay_alu instid0(VALU_DEP_4) | instskip(NEXT) | instid1(VALU_DEP_3)
	v_fma_f64 v[46:47], v[46:47], -0.5, v[190:191]
	v_fma_f64 v[56:57], v[38:39], s[0:1], v[44:45]
	v_fma_f64 v[60:61], v[38:39], s[8:9], v[44:45]
	s_delay_alu instid0(VALU_DEP_3)
	v_fma_f64 v[58:59], v[36:37], s[8:9], v[46:47]
	v_fma_f64 v[62:63], v[36:37], s[0:1], v[46:47]
	scratch_load_b32 v36, off, off offset:300 ; 4-byte Folded Reload
	s_waitcnt vmcnt(0)
	ds_store_b128 v36, v[0:3]
	ds_store_b128 v36, v[4:7] offset:208
	ds_store_b128 v36, v[8:11] offset:416
	scratch_load_b32 v0, off, off offset:280 ; 4-byte Folded Reload
	s_waitcnt vmcnt(0)
	ds_store_b128 v0, v[12:15]
	ds_store_b128 v0, v[16:19] offset:208
	ds_store_b128 v0, v[20:23] offset:416
	;; [unrolled: 5-line block ×3, first 2 shown]
	s_and_saveexec_b32 s0, vcc_lo
	s_cbranch_execz .LBB0_13
; %bb.12:
	s_clause 0x1
	scratch_load_b32 v0, off, off offset:220
	scratch_load_b32 v1, off, off offset:224
	s_waitcnt vmcnt(0)
	v_mad_u16 v0, v0, 39, v1
	s_delay_alu instid0(VALU_DEP_1) | instskip(NEXT) | instid1(VALU_DEP_1)
	v_and_b32_e32 v0, 0xffff, v0
	v_lshlrev_b32_e32 v0, 4, v0
	ds_store_b128 v0, v[52:55]
	ds_store_b128 v0, v[56:59] offset:208
	ds_store_b128 v0, v[60:63] offset:416
.LBB0_13:
	s_or_b32 exec_lo, exec_lo, s0
	s_waitcnt lgkmcnt(0)
	s_barrier
	buffer_gl0_inv
	ds_load_b128 v[72:75], v255
	ds_load_b128 v[68:71], v255 offset:1872
	ds_load_b128 v[184:187], v255 offset:8112
	;; [unrolled: 1-line block ×11, first 2 shown]
	s_mov_b32 s0, exec_lo
	scratch_load_b32 v200, off, off offset:216 ; 4-byte Folded Reload
	s_and_b32 s1, s0, vcc_lo
	s_delay_alu instid0(SALU_CYCLE_1)
	s_mov_b32 exec_lo, s1
	s_cbranch_execz .LBB0_15
; %bb.14:
	ds_load_b128 v[52:55], v255 offset:7488
	ds_load_b128 v[56:59], v255 offset:15600
	;; [unrolled: 1-line block ×3, first 2 shown]
.LBB0_15:
	s_or_b32 exec_lo, exec_lo, s0
	s_waitcnt lgkmcnt(9)
	v_mul_f64 v[0:1], v[138:139], v[186:187]
	s_waitcnt lgkmcnt(7)
	v_mul_f64 v[2:3], v[142:143], v[194:195]
	s_waitcnt vmcnt(0) lgkmcnt(0)
	s_barrier
	buffer_gl0_inv
	v_mul_f64 v[4:5], v[138:139], v[184:185]
	v_mul_f64 v[6:7], v[142:143], v[192:193]
	;; [unrolled: 1-line block ×12, first 2 shown]
	s_mov_b32 s0, 0xe8584caa
	s_mov_b32 s1, 0xbfebb67a
	;; [unrolled: 1-line block ×3, first 2 shown]
	v_mul_f64 v[26:27], v[122:123], v[182:183]
	v_mul_f64 v[30:31], v[122:123], v[180:181]
	v_fma_f64 v[0:1], v[136:137], v[184:185], v[0:1]
	v_fma_f64 v[2:3], v[140:141], v[192:193], v[2:3]
	v_fma_f64 v[4:5], v[136:137], v[186:187], -v[4:5]
	v_fma_f64 v[6:7], v[140:141], v[194:195], -v[6:7]
	v_fma_f64 v[8:9], v[124:125], v[80:81], v[8:9]
	v_fma_f64 v[10:11], v[128:129], v[88:89], v[10:11]
	;; [unrolled: 1-line block ×4, first 2 shown]
	v_fma_f64 v[12:13], v[124:125], v[82:83], -v[12:13]
	v_fma_f64 v[14:15], v[128:129], v[90:91], -v[14:15]
	v_fma_f64 v[20:21], v[100:101], v[190:191], -v[20:21]
	v_fma_f64 v[24:25], v[108:109], v[84:85], v[24:25]
	v_fma_f64 v[22:23], v[104:105], v[198:199], -v[22:23]
	v_fma_f64 v[28:29], v[108:109], v[86:87], -v[28:29]
	v_fma_f64 v[26:27], v[120:121], v[180:181], v[26:27]
	v_fma_f64 v[30:31], v[120:121], v[182:183], -v[30:31]
	v_add_f64 v[48:49], v[72:73], v[0:1]
	v_add_f64 v[32:33], v[0:1], v[2:3]
	;; [unrolled: 1-line block ×3, first 2 shown]
	v_add_f64 v[50:51], v[4:5], -v[6:7]
	v_add_f64 v[4:5], v[74:75], v[4:5]
	v_add_f64 v[36:37], v[8:9], v[10:11]
	;; [unrolled: 1-line block ×13, first 2 shown]
	v_fma_f64 v[32:33], v[32:33], -0.5, v[72:73]
	v_add_f64 v[72:73], v[0:1], -v[2:3]
	v_add_f64 v[0:1], v[48:49], v[2:3]
	scratch_load_b32 v48, off, off offset:324 ; 4-byte Folded Reload
	v_fma_f64 v[34:35], v[34:35], -0.5, v[74:75]
	v_add_f64 v[74:75], v[12:13], -v[14:15]
	v_add_f64 v[2:3], v[4:5], v[6:7]
	v_fma_f64 v[36:37], v[36:37], -0.5, v[68:69]
	v_add_f64 v[68:69], v[8:9], -v[10:11]
	v_fma_f64 v[40:41], v[40:41], -0.5, v[76:77]
	v_add_f64 v[76:77], v[16:17], -v[18:19]
	v_add_f64 v[8:9], v[84:85], v[18:19]
	v_fma_f64 v[38:39], v[38:39], -0.5, v[70:71]
	v_add_f64 v[70:71], v[20:21], -v[22:23]
	v_add_f64 v[4:5], v[80:81], v[10:11]
	v_add_f64 v[10:11], v[86:87], v[22:23]
	;; [unrolled: 1-line block ×4, first 2 shown]
	v_fma_f64 v[44:45], v[44:45], -0.5, v[64:65]
	v_add_f64 v[64:65], v[24:25], -v[26:27]
	v_fma_f64 v[42:43], v[42:43], -0.5, v[78:79]
	v_add_f64 v[78:79], v[28:29], -v[30:31]
	v_add_f64 v[14:15], v[90:91], v[30:31]
	v_fma_f64 v[46:47], v[46:47], -0.5, v[66:67]
	v_fma_f64 v[16:17], v[50:51], s[0:1], v[32:33]
	v_fma_f64 v[20:21], v[50:51], s[8:9], v[32:33]
	v_fma_f64 v[18:19], v[72:73], s[8:9], v[34:35]
	v_fma_f64 v[22:23], v[72:73], s[0:1], v[34:35]
	s_waitcnt vmcnt(0)
	ds_store_b128 v48, v[0:3]
	ds_store_b128 v48, v[16:19] offset:624
	ds_store_b128 v48, v[20:23] offset:1248
	scratch_load_b32 v0, off, off offset:320 ; 4-byte Folded Reload
	v_fma_f64 v[24:25], v[74:75], s[0:1], v[36:37]
	v_fma_f64 v[26:27], v[68:69], s[8:9], v[38:39]
	;; [unrolled: 1-line block ×12, first 2 shown]
	s_waitcnt vmcnt(0)
	ds_store_b128 v0, v[4:7]
	ds_store_b128 v0, v[24:27] offset:624
	ds_store_b128 v0, v[28:31] offset:1248
	scratch_load_b32 v0, off, off offset:316 ; 4-byte Folded Reload
	s_waitcnt vmcnt(0)
	ds_store_b128 v0, v[8:11]
	ds_store_b128 v0, v[32:35] offset:624
	ds_store_b128 v0, v[36:39] offset:1248
	scratch_load_b32 v0, off, off offset:312 ; 4-byte Folded Reload
	s_waitcnt vmcnt(0)
	ds_store_b128 v0, v[12:15]
	ds_store_b128 v0, v[40:43] offset:624
	ds_store_b128 v0, v[44:47] offset:1248
	s_and_saveexec_b32 s10, vcc_lo
	s_cbranch_execz .LBB0_17
; %bb.16:
	s_clause 0x1
	scratch_load_b128 v[8:11], off, off offset:424
	scratch_load_b128 v[12:15], off, off offset:440
	s_waitcnt vmcnt(1)
	v_mul_f64 v[0:1], v[10:11], v[56:57]
	s_waitcnt vmcnt(0)
	v_mul_f64 v[2:3], v[14:15], v[60:61]
	v_mul_f64 v[4:5], v[10:11], v[58:59]
	;; [unrolled: 1-line block ×3, first 2 shown]
	s_delay_alu instid0(VALU_DEP_4) | instskip(NEXT) | instid1(VALU_DEP_4)
	v_fma_f64 v[0:1], v[8:9], v[58:59], -v[0:1]
	v_fma_f64 v[2:3], v[12:13], v[62:63], -v[2:3]
	s_delay_alu instid0(VALU_DEP_4) | instskip(NEXT) | instid1(VALU_DEP_4)
	v_fma_f64 v[4:5], v[8:9], v[56:57], v[4:5]
	v_fma_f64 v[6:7], v[12:13], v[60:61], v[6:7]
	s_delay_alu instid0(VALU_DEP_4) | instskip(NEXT) | instid1(VALU_DEP_4)
	v_add_f64 v[14:15], v[54:55], v[0:1]
	v_add_f64 v[8:9], v[0:1], v[2:3]
	v_add_f64 v[16:17], v[0:1], -v[2:3]
	s_delay_alu instid0(VALU_DEP_4)
	v_add_f64 v[10:11], v[4:5], v[6:7]
	v_add_f64 v[12:13], v[4:5], -v[6:7]
	v_add_f64 v[4:5], v[52:53], v[4:5]
	v_add_f64 v[2:3], v[14:15], v[2:3]
	v_fma_f64 v[8:9], v[8:9], -0.5, v[54:55]
	v_fma_f64 v[18:19], v[10:11], -0.5, v[52:53]
	s_delay_alu instid0(VALU_DEP_4) | instskip(NEXT) | instid1(VALU_DEP_3)
	v_add_f64 v[0:1], v[4:5], v[6:7]
	v_fma_f64 v[6:7], v[12:13], s[0:1], v[8:9]
	v_fma_f64 v[10:11], v[12:13], s[8:9], v[8:9]
	scratch_load_b32 v12, off, off offset:308 ; 4-byte Folded Reload
	v_fma_f64 v[8:9], v[16:17], s[0:1], v[18:19]
	v_fma_f64 v[4:5], v[16:17], s[8:9], v[18:19]
	s_waitcnt vmcnt(0)
	v_lshlrev_b32_e32 v12, 4, v12
	ds_store_b128 v12, v[0:3] offset:22464
	ds_store_b128 v12, v[8:11] offset:23088
	ds_store_b128 v12, v[4:7] offset:23712
.LBB0_17:
	s_or_b32 exec_lo, exec_lo, s10
	s_waitcnt lgkmcnt(0)
	s_barrier
	buffer_gl0_inv
	ds_load_b128 v[0:3], v255 offset:1872
	ds_load_b128 v[6:9], v255 offset:22464
	;; [unrolled: 1-line block ×4, first 2 shown]
	ds_load_b128 v[52:55], v255
	ds_load_b128 v[18:21], v255 offset:5616
	ds_load_b128 v[22:25], v255 offset:18720
	ds_load_b128 v[26:29], v255 offset:7488
	ds_load_b128 v[30:33], v255 offset:9360
	ds_load_b128 v[34:37], v255 offset:14976
	ds_load_b128 v[38:41], v255 offset:16848
	ds_load_b128 v[42:45], v255 offset:11232
	ds_load_b128 v[46:49], v255 offset:13104
	s_mov_b32 s10, 0x4267c47c
	s_mov_b32 s12, 0xe00740e9
	;; [unrolled: 1-line block ×13, first 2 shown]
	s_waitcnt lgkmcnt(12)
	v_mul_f64 v[4:5], v[134:135], v[2:3]
	v_mul_f64 v[50:51], v[134:135], v[0:1]
	s_waitcnt lgkmcnt(11)
	v_mul_f64 v[56:57], v[178:179], v[6:7]
	s_waitcnt lgkmcnt(10)
	v_mul_f64 v[58:59], v[114:115], v[10:11]
	v_mul_f64 v[62:63], v[114:115], v[12:13]
	s_waitcnt lgkmcnt(6)
	v_mul_f64 v[66:67], v[170:171], v[22:23]
	v_mul_f64 v[70:71], v[178:179], v[8:9]
	;; [unrolled: 1-line block ×3, first 2 shown]
	s_waitcnt lgkmcnt(5)
	v_mul_f64 v[76:77], v[162:163], v[26:27]
	v_mul_f64 v[78:79], v[170:171], v[24:25]
	s_waitcnt lgkmcnt(2)
	v_mul_f64 v[80:81], v[166:167], v[40:41]
	v_mul_f64 v[60:61], v[174:175], v[14:15]
	;; [unrolled: 1-line block ×8, first 2 shown]
	s_waitcnt lgkmcnt(1)
	v_mul_f64 v[86:87], v[146:147], v[42:43]
	s_waitcnt lgkmcnt(0)
	v_mul_f64 v[90:91], v[158:159], v[46:47]
	s_mov_b32 s15, 0x3fe22d96
	s_mov_b32 s21, 0x3fbedb7d
	;; [unrolled: 1-line block ×7, first 2 shown]
	v_mul_f64 v[88:89], v[158:159], v[48:49]
	s_mov_b32 s18, 0x66966769
	s_mov_b32 s40, 0x4bc48dbf
	;; [unrolled: 1-line block ×10, first 2 shown]
	v_fma_f64 v[84:85], v[132:133], v[0:1], v[4:5]
	v_fma_f64 v[50:51], v[132:133], v[2:3], -v[50:51]
	v_fma_f64 v[0:1], v[176:177], v[8:9], -v[56:57]
	;; [unrolled: 1-line block ×3, first 2 shown]
	v_mul_f64 v[58:59], v[150:151], v[30:31]
	v_fma_f64 v[8:9], v[168:169], v[24:25], -v[66:67]
	v_fma_f64 v[24:25], v[112:113], v[10:11], v[62:63]
	v_fma_f64 v[2:3], v[176:177], v[6:7], v[70:71]
	;; [unrolled: 1-line block ×4, first 2 shown]
	v_fma_f64 v[22:23], v[160:161], v[28:29], -v[76:77]
	v_fma_f64 v[14:15], v[164:165], v[38:39], v[80:81]
	v_fma_f64 v[4:5], v[172:173], v[16:17], -v[60:61]
	v_mul_f64 v[16:17], v[150:151], v[32:33]
	v_fma_f64 v[20:21], v[116:117], v[20:21], -v[64:65]
	v_fma_f64 v[62:63], v[116:117], v[18:19], v[68:69]
	v_fma_f64 v[18:19], v[152:153], v[34:35], v[92:93]
	v_mul_f64 v[60:61], v[146:147], v[44:45]
	v_fma_f64 v[26:27], v[160:161], v[26:27], v[72:73]
	v_fma_f64 v[12:13], v[164:165], v[40:41], -v[82:83]
	v_fma_f64 v[44:45], v[144:145], v[44:45], -v[86:87]
	;; [unrolled: 1-line block ×3, first 2 shown]
	s_mov_b32 s16, s8
	s_mov_b32 s22, s18
	;; [unrolled: 1-line block ×5, first 2 shown]
	v_fma_f64 v[46:47], v[156:157], v[46:47], v[88:89]
	v_add_f64 v[28:29], v[52:53], v[84:85]
	v_add_f64 v[38:39], v[54:55], v[50:51]
	v_add_f64 v[40:41], v[50:51], -v[0:1]
	v_add_f64 v[50:51], v[50:51], v[0:1]
	v_fma_f64 v[32:33], v[148:149], v[32:33], -v[58:59]
	v_add_f64 v[58:59], v[84:85], v[2:3]
	v_add_f64 v[68:69], v[24:25], v[6:7]
	v_add_f64 v[70:71], v[24:25], -v[6:7]
	v_add_f64 v[64:65], v[56:57], -v[4:5]
	v_fma_f64 v[30:31], v[148:149], v[30:31], v[16:17]
	v_fma_f64 v[16:17], v[152:153], v[36:37], -v[94:95]
	v_add_f64 v[34:35], v[20:21], -v[8:9]
	v_add_f64 v[36:37], v[20:21], v[8:9]
	v_add_f64 v[66:67], v[56:57], v[4:5]
	v_fma_f64 v[42:43], v[144:145], v[42:43], v[60:61]
	v_add_f64 v[60:61], v[84:85], -v[2:3]
	v_add_f64 v[72:73], v[62:63], v[10:11]
	v_add_f64 v[74:75], v[62:63], -v[10:11]
	v_add_f64 v[78:79], v[22:23], v[12:13]
	;; [unrolled: 2-line block ×4, first 2 shown]
	v_add_f64 v[28:29], v[38:39], v[56:57]
	v_mul_f64 v[38:39], v[40:41], s[10:11]
	v_mul_f64 v[56:57], v[50:51], s[12:13]
	v_mul_f64 v[84:85], v[40:41], s[8:9]
	v_mul_f64 v[86:87], v[50:51], s[14:15]
	v_mul_f64 v[90:91], v[50:51], s[20:21]
	v_mul_f64 v[92:93], v[40:41], s[26:27]
	v_mul_f64 v[94:95], v[50:51], s[28:29]
	v_mul_f64 v[96:97], v[40:41], s[24:25]
	v_mul_f64 v[98:99], v[50:51], s[36:37]
	v_mul_f64 v[50:51], v[50:51], s[42:43]
	v_mul_f64 v[88:89], v[40:41], s[18:19]
	v_mul_f64 v[40:41], v[40:41], s[40:41]
	v_mul_f64 v[100:101], v[64:65], s[8:9]
	v_mul_f64 v[104:105], v[64:65], s[26:27]
	v_mul_f64 v[112:113], v[64:65], s[38:39]
	v_mul_f64 v[102:103], v[66:67], s[14:15]
	v_mul_f64 v[106:107], v[66:67], s[28:29]
	v_mul_f64 v[110:111], v[66:67], s[42:43]
	v_mul_f64 v[114:115], v[66:67], s[36:37]
	v_mul_f64 v[116:117], v[64:65], s[22:23]
	v_mul_f64 v[118:119], v[66:67], s[20:21]
	v_mul_f64 v[66:67], v[66:67], s[12:13]
	v_mul_f64 v[108:109], v[64:65], s[40:41]
	v_mul_f64 v[64:65], v[64:65], s[0:1]
	v_mul_f64 v[120:121], v[34:35], s[18:19]
	v_mul_f64 v[122:123], v[36:37], s[20:21]
	v_mul_f64 v[124:125], v[34:35], s[40:41]
	v_mul_f64 v[126:127], v[36:37], s[42:43]
	v_mul_f64 v[128:129], v[34:35], s[30:31]
	v_mul_f64 v[130:131], v[36:37], s[28:29]
	v_mul_f64 v[132:133], v[34:35], s[0:1]
	v_mul_f64 v[134:135], v[36:37], s[12:13]
	v_mul_f64 v[136:137], v[34:35], s[8:9]
	v_mul_f64 v[138:139], v[36:37], s[14:15]
	v_mul_f64 v[34:35], v[34:35], s[24:25]
	v_mul_f64 v[36:37], v[36:37], s[36:37]
	v_add_f64 v[24:25], v[24:25], v[62:63]
	v_add_f64 v[20:21], v[28:29], v[20:21]
	v_fma_f64 v[28:29], v[58:59], s[12:13], v[38:39]
	v_fma_f64 v[62:63], v[60:61], s[0:1], v[56:57]
	v_fma_f64 v[38:39], v[58:59], s[12:13], -v[38:39]
	v_fma_f64 v[56:57], v[60:61], s[10:11], v[56:57]
	v_fma_f64 v[160:161], v[58:59], s[14:15], v[84:85]
	;; [unrolled: 1-line block ×3, first 2 shown]
	v_fma_f64 v[84:85], v[58:59], s[14:15], -v[84:85]
	v_fma_f64 v[86:87], v[60:61], s[8:9], v[86:87]
	v_fma_f64 v[166:167], v[60:61], s[22:23], v[90:91]
	;; [unrolled: 1-line block ×5, first 2 shown]
	v_fma_f64 v[92:93], v[58:59], s[28:29], -v[92:93]
	v_fma_f64 v[94:95], v[60:61], s[26:27], v[94:95]
	v_fma_f64 v[172:173], v[58:59], s[36:37], v[96:97]
	;; [unrolled: 1-line block ×4, first 2 shown]
	v_mul_f64 v[140:141], v[82:83], s[26:27]
	v_mul_f64 v[142:143], v[78:79], s[28:29]
	v_fma_f64 v[164:165], v[58:59], s[20:21], v[88:89]
	v_fma_f64 v[88:89], v[58:59], s[20:21], -v[88:89]
	v_fma_f64 v[96:97], v[58:59], s[36:37], -v[96:97]
	v_fma_f64 v[98:99], v[60:61], s[24:25], v[98:99]
	v_fma_f64 v[176:177], v[58:59], s[42:43], v[40:41]
	v_fma_f64 v[40:41], v[58:59], s[42:43], -v[40:41]
	v_fma_f64 v[50:51], v[60:61], s[40:41], v[50:51]
	v_fma_f64 v[58:59], v[68:69], s[14:15], v[100:101]
	v_fma_f64 v[60:61], v[70:71], s[16:17], v[102:103]
	v_fma_f64 v[100:101], v[68:69], s[14:15], -v[100:101]
	v_fma_f64 v[102:103], v[70:71], s[8:9], v[102:103]
	;; [unrolled: 4-line block ×3, first 2 shown]
	v_fma_f64 v[186:187], v[70:71], s[34:35], v[110:111]
	v_fma_f64 v[110:111], v[70:71], s[40:41], v[110:111]
	v_add_f64 v[24:25], v[24:25], v[26:27]
	v_add_f64 v[20:21], v[20:21], v[22:23]
	v_fma_f64 v[188:189], v[68:69], s[36:37], v[112:113]
	v_fma_f64 v[190:191], v[70:71], s[24:25], v[114:115]
	v_fma_f64 v[112:113], v[68:69], s[36:37], -v[112:113]
	v_fma_f64 v[22:23], v[70:71], s[38:39], v[114:115]
	v_fma_f64 v[26:27], v[68:69], s[20:21], v[116:117]
	;; [unrolled: 1-line block ×3, first 2 shown]
	v_add_f64 v[28:29], v[52:53], v[28:29]
	v_add_f64 v[62:63], v[54:55], v[62:63]
	v_fma_f64 v[194:195], v[70:71], s[10:11], v[66:67]
	v_add_f64 v[38:39], v[52:53], v[38:39]
	v_add_f64 v[56:57], v[54:55], v[56:57]
	v_add_f64 v[160:161], v[52:53], v[160:161]
	v_add_f64 v[162:163], v[54:55], v[162:163]
	v_add_f64 v[84:85], v[52:53], v[84:85]
	v_add_f64 v[86:87], v[54:55], v[86:87]
	v_add_f64 v[90:91], v[54:55], v[90:91]
	v_add_f64 v[92:93], v[52:53], v[92:93]
	v_add_f64 v[94:95], v[54:55], v[94:95]
	v_add_f64 v[172:173], v[52:53], v[172:173]
	v_add_f64 v[174:175], v[54:55], v[174:175]
	v_add_f64 v[178:179], v[54:55], v[178:179]
	v_mul_f64 v[144:145], v[82:83], s[38:39]
	v_mul_f64 v[146:147], v[78:79], s[36:37]
	;; [unrolled: 1-line block ×10, first 2 shown]
	v_fma_f64 v[184:185], v[68:69], s[42:43], v[108:109]
	v_fma_f64 v[108:109], v[68:69], s[42:43], -v[108:109]
	v_fma_f64 v[116:117], v[68:69], s[20:21], -v[116:117]
	v_fma_f64 v[118:119], v[70:71], s[22:23], v[118:119]
	v_fma_f64 v[192:193], v[68:69], s[12:13], v[64:65]
	v_add_f64 v[24:25], v[24:25], v[30:31]
	v_add_f64 v[20:21], v[20:21], v[32:33]
	v_fma_f64 v[64:65], v[68:69], s[12:13], -v[64:65]
	v_fma_f64 v[66:67], v[70:71], s[0:1], v[66:67]
	v_fma_f64 v[68:69], v[72:73], s[20:21], v[120:121]
	;; [unrolled: 1-line block ×3, first 2 shown]
	v_fma_f64 v[120:121], v[72:73], s[20:21], -v[120:121]
	v_fma_f64 v[122:123], v[74:75], s[18:19], v[122:123]
	v_add_f64 v[164:165], v[52:53], v[164:165]
	v_add_f64 v[166:167], v[54:55], v[166:167]
	;; [unrolled: 1-line block ×10, first 2 shown]
	v_fma_f64 v[52:53], v[72:73], s[42:43], v[124:125]
	v_fma_f64 v[54:55], v[74:75], s[34:35], v[126:127]
	v_fma_f64 v[124:125], v[72:73], s[42:43], -v[124:125]
	v_fma_f64 v[126:127], v[74:75], s[40:41], v[126:127]
	v_add_f64 v[28:29], v[58:59], v[28:29]
	v_fma_f64 v[58:59], v[72:73], s[28:29], v[128:129]
	v_add_f64 v[60:61], v[60:61], v[62:63]
	v_fma_f64 v[62:63], v[74:75], s[26:27], v[130:131]
	v_fma_f64 v[128:129], v[72:73], s[28:29], -v[128:129]
	v_fma_f64 v[130:131], v[74:75], s[30:31], v[130:131]
	v_add_f64 v[38:39], v[100:101], v[38:39]
	v_fma_f64 v[100:101], v[72:73], s[12:13], v[132:133]
	v_add_f64 v[56:57], v[102:103], v[56:57]
	;; [unrolled: 6-line block ×3, first 2 shown]
	v_fma_f64 v[182:183], v[74:75], s[16:17], v[138:139]
	v_add_f64 v[24:25], v[24:25], v[42:43]
	v_add_f64 v[20:21], v[20:21], v[44:45]
	v_fma_f64 v[136:137], v[72:73], s[14:15], -v[136:137]
	v_fma_f64 v[138:139], v[74:75], s[8:9], v[138:139]
	v_add_f64 v[84:85], v[104:105], v[84:85]
	v_fma_f64 v[104:105], v[72:73], s[36:37], v[34:35]
	v_add_f64 v[86:87], v[106:107], v[86:87]
	v_add_f64 v[90:91], v[110:111], v[90:91]
	;; [unrolled: 1-line block ×6, first 2 shown]
	v_fma_f64 v[112:113], v[74:75], s[38:39], v[36:37]
	v_fma_f64 v[34:35], v[72:73], s[36:37], -v[34:35]
	v_fma_f64 v[36:37], v[74:75], s[24:25], v[36:37]
	v_fma_f64 v[72:73], v[76:77], s[28:29], v[140:141]
	;; [unrolled: 1-line block ×3, first 2 shown]
	v_fma_f64 v[114:115], v[76:77], s[28:29], -v[140:141]
	v_fma_f64 v[140:141], v[80:81], s[26:27], v[142:143]
	v_add_f64 v[142:143], v[32:33], -v[16:17]
	v_add_f64 v[32:33], v[32:33], v[16:17]
	v_add_f64 v[178:179], v[194:195], v[178:179]
	;; [unrolled: 1-line block ×7, first 2 shown]
	v_fma_f64 v[166:167], v[76:77], s[36:37], v[144:145]
	v_fma_f64 v[168:169], v[80:81], s[24:25], v[146:147]
	v_fma_f64 v[144:145], v[76:77], s[36:37], -v[144:145]
	v_fma_f64 v[146:147], v[80:81], s[38:39], v[146:147]
	v_fma_f64 v[170:171], v[76:77], s[12:13], v[148:149]
	;; [unrolled: 1-line block ×3, first 2 shown]
	v_fma_f64 v[148:149], v[76:77], s[12:13], -v[148:149]
	v_fma_f64 v[150:151], v[80:81], s[0:1], v[150:151]
	v_fma_f64 v[174:175], v[76:77], s[20:21], v[152:153]
	;; [unrolled: 1-line block ×3, first 2 shown]
	v_fma_f64 v[152:153], v[76:77], s[20:21], -v[152:153]
	v_add_f64 v[24:25], v[24:25], v[46:47]
	v_add_f64 v[20:21], v[20:21], v[48:49]
	v_fma_f64 v[154:155], v[80:81], s[18:19], v[154:155]
	v_fma_f64 v[186:187], v[76:77], s[42:43], v[156:157]
	;; [unrolled: 1-line block ×3, first 2 shown]
	v_fma_f64 v[156:157], v[76:77], s[42:43], -v[156:157]
	v_fma_f64 v[158:159], v[80:81], s[34:35], v[158:159]
	v_fma_f64 v[190:191], v[76:77], s[14:15], v[82:83]
	v_fma_f64 v[76:77], v[76:77], s[14:15], -v[82:83]
	v_fma_f64 v[82:83], v[80:81], s[8:9], v[78:79]
	v_fma_f64 v[78:79], v[80:81], s[16:17], v[78:79]
	v_add_f64 v[80:81], v[44:45], -v[48:49]
	v_add_f64 v[44:45], v[44:45], v[48:49]
	v_add_f64 v[96:97], v[116:117], v[96:97]
	;; [unrolled: 1-line block ×3, first 2 shown]
	v_add_f64 v[30:31], v[30:31], -v[18:19]
	v_add_f64 v[98:99], v[118:119], v[98:99]
	v_add_f64 v[118:119], v[42:43], v[46:47]
	v_add_f64 v[42:43], v[42:43], -v[46:47]
	v_mul_f64 v[46:47], v[142:143], s[24:25]
	v_mul_f64 v[48:49], v[32:33], s[36:37]
	v_add_f64 v[176:177], v[192:193], v[176:177]
	v_mul_f64 v[192:193], v[142:143], s[22:23]
	v_mul_f64 v[194:195], v[32:33], s[20:21]
	v_add_f64 v[40:41], v[64:65], v[40:41]
	v_add_f64 v[50:51], v[66:67], v[50:51]
	v_mul_f64 v[66:67], v[32:33], s[14:15]
	v_add_f64 v[28:29], v[68:69], v[28:29]
	v_add_f64 v[38:39], v[120:121], v[38:39]
	v_mul_f64 v[120:121], v[32:33], s[42:43]
	v_add_f64 v[56:57], v[122:123], v[56:57]
	v_mul_f64 v[122:123], v[142:143], s[0:1]
	v_add_f64 v[52:53], v[52:53], v[160:161]
	v_mul_f64 v[160:161], v[32:33], s[12:13]
	v_mul_f64 v[32:33], v[32:33], s[28:29]
	v_add_f64 v[54:55], v[54:55], v[162:163]
	v_add_f64 v[86:87], v[126:127], v[86:87]
	;; [unrolled: 1-line block ×7, first 2 shown]
	v_mul_f64 v[68:69], v[142:143], s[34:35]
	v_add_f64 v[62:63], v[62:63], v[164:165]
	v_add_f64 v[88:89], v[128:129], v[88:89]
	;; [unrolled: 1-line block ×6, first 2 shown]
	v_mul_f64 v[24:25], v[80:81], s[26:27]
	v_mul_f64 v[128:129], v[44:45], s[36:37]
	;; [unrolled: 1-line block ×3, first 2 shown]
	v_add_f64 v[96:97], v[136:137], v[96:97]
	v_add_f64 v[84:85], v[124:125], v[84:85]
	;; [unrolled: 1-line block ×3, first 2 shown]
	v_mul_f64 v[130:131], v[80:81], s[16:17]
	v_mul_f64 v[20:21], v[44:45], s[28:29]
	v_fma_f64 v[110:111], v[116:117], s[36:37], v[46:47]
	v_fma_f64 v[132:133], v[30:31], s[38:39], v[48:49]
	;; [unrolled: 1-line block ×6, first 2 shown]
	v_add_f64 v[104:105], v[104:105], v[176:177]
	v_fma_f64 v[136:137], v[30:31], s[16:17], v[66:67]
	v_fma_f64 v[66:67], v[30:31], s[8:9], v[66:67]
	v_add_f64 v[34:35], v[34:35], v[40:41]
	v_fma_f64 v[176:177], v[30:31], s[40:41], v[120:121]
	v_fma_f64 v[120:121], v[30:31], s[34:35], v[120:121]
	;; [unrolled: 1-line block ×3, first 2 shown]
	v_add_f64 v[36:37], v[36:37], v[50:51]
	v_fma_f64 v[40:41], v[30:31], s[10:11], v[160:161]
	v_fma_f64 v[160:161], v[30:31], s[0:1], v[160:161]
	v_add_f64 v[28:29], v[72:73], v[28:29]
	v_add_f64 v[52:53], v[166:167], v[52:53]
	;; [unrolled: 1-line block ×5, first 2 shown]
	v_fma_f64 v[18:19], v[30:31], s[30:31], v[32:33]
	v_fma_f64 v[16:17], v[30:31], s[26:27], v[32:33]
	v_add_f64 v[30:31], v[70:71], v[60:61]
	v_add_f64 v[86:87], v[146:147], v[86:87]
	;; [unrolled: 1-line block ×5, first 2 shown]
	v_fma_f64 v[46:47], v[116:117], s[36:37], -v[46:47]
	v_fma_f64 v[138:139], v[116:117], s[42:43], v[68:69]
	v_fma_f64 v[68:69], v[116:117], s[42:43], -v[68:69]
	v_add_f64 v[38:39], v[114:115], v[38:39]
	v_add_f64 v[62:63], v[172:173], v[62:63]
	;; [unrolled: 1-line block ×4, first 2 shown]
	v_mul_f64 v[64:65], v[142:143], s[8:9]
	v_fma_f64 v[112:113], v[118:119], s[14:15], -v[130:131]
	v_fma_f64 v[144:145], v[42:43], s[26:27], v[20:21]
	v_add_f64 v[58:59], v[58:59], v[106:107]
	v_add_f64 v[94:95], v[182:183], v[94:95]
	v_mul_f64 v[142:143], v[142:143], s[26:27]
	v_mul_f64 v[162:163], v[80:81], s[40:41]
	;; [unrolled: 1-line block ×7, first 2 shown]
	v_add_f64 v[34:35], v[76:77], v[34:35]
	v_add_f64 v[76:77], v[158:159], v[98:99]
	v_fma_f64 v[98:99], v[42:43], s[8:9], v[108:109]
	v_mul_f64 v[44:45], v[44:45], s[20:21]
	v_add_f64 v[36:37], v[78:79], v[36:37]
	v_fma_f64 v[78:79], v[118:119], s[14:15], v[130:131]
	v_fma_f64 v[130:131], v[42:43], s[30:31], v[20:21]
	v_add_f64 v[56:57], v[140:141], v[56:57]
	v_add_f64 v[100:101], v[174:175], v[100:101]
	;; [unrolled: 1-line block ×8, first 2 shown]
	v_fma_f64 v[74:75], v[42:43], s[16:17], v[108:109]
	v_fma_f64 v[108:109], v[118:119], s[28:29], v[24:25]
	v_add_f64 v[30:31], v[180:181], v[54:55]
	v_add_f64 v[52:53], v[194:195], v[86:87]
	;; [unrolled: 1-line block ×5, first 2 shown]
	v_fma_f64 v[82:83], v[42:43], s[24:25], v[128:129]
	v_add_f64 v[20:21], v[46:47], v[38:39]
	v_add_f64 v[46:47], v[136:137], v[62:63]
	;; [unrolled: 1-line block ×3, first 2 shown]
	v_fma_f64 v[182:183], v[116:117], s[14:15], v[64:65]
	v_fma_f64 v[192:193], v[116:117], s[20:21], -v[192:193]
	v_add_f64 v[104:105], v[190:191], v[104:105]
	v_add_f64 v[58:59], v[170:171], v[58:59]
	v_add_f64 v[94:95], v[188:189], v[94:95]
	v_fma_f64 v[50:51], v[116:117], s[28:29], v[142:143]
	v_fma_f64 v[64:65], v[116:117], s[14:15], -v[64:65]
	v_fma_f64 v[122:123], v[116:117], s[12:13], -v[122:123]
	;; [unrolled: 1-line block ×3, first 2 shown]
	v_add_f64 v[88:89], v[148:149], v[88:89]
	v_add_f64 v[96:97], v[156:157], v[96:97]
	;; [unrolled: 1-line block ×3, first 2 shown]
	v_fma_f64 v[32:33], v[118:119], s[42:43], v[162:163]
	v_fma_f64 v[60:61], v[118:119], s[42:43], -v[162:163]
	v_fma_f64 v[142:143], v[118:119], s[12:13], v[126:127]
	v_fma_f64 v[162:163], v[42:43], s[10:11], v[106:107]
	v_add_f64 v[68:69], v[16:17], v[36:37]
	v_fma_f64 v[126:127], v[118:119], s[12:13], -v[126:127]
	v_fma_f64 v[72:73], v[118:119], s[36:37], v[164:165]
	v_fma_f64 v[114:115], v[42:43], s[38:39], v[128:129]
	v_fma_f64 v[164:165], v[118:119], s[36:37], -v[164:165]
	v_fma_f64 v[140:141], v[118:119], s[28:29], -v[24:25]
	v_fma_f64 v[146:147], v[118:119], s[20:21], v[80:81]
	v_add_f64 v[86:87], v[8:9], v[4:5]
	v_fma_f64 v[148:149], v[42:43], s[18:19], v[44:45]
	v_fma_f64 v[80:81], v[118:119], s[20:21], -v[80:81]
	v_fma_f64 v[118:119], v[42:43], s[22:23], v[44:45]
	v_add_f64 v[24:25], v[48:49], v[56:57]
	v_add_f64 v[56:57], v[138:139], v[100:101]
	v_fma_f64 v[70:71], v[42:43], s[40:41], v[124:125]
	v_add_f64 v[76:77], v[160:161], v[76:77]
	v_add_f64 v[6:7], v[10:11], v[6:7]
	v_add_f64 v[36:37], v[108:109], v[26:27]
	v_add_f64 v[90:91], v[132:133], v[12:13]
	v_add_f64 v[26:27], v[82:83], v[54:55]
	v_add_f64 v[38:39], v[192:193], v[84:85]
	v_fma_f64 v[84:85], v[42:43], s[0:1], v[106:107]
	v_add_f64 v[44:45], v[182:183], v[58:59]
	v_add_f64 v[58:59], v[176:177], v[102:103]
	;; [unrolled: 1-line block ×4, first 2 shown]
	s_mul_i32 s1, s5, 0x750
	v_add_f64 v[34:35], v[116:117], v[34:35]
	v_add_f64 v[48:49], v[64:65], v[88:89]
	;; [unrolled: 1-line block ×4, first 2 shown]
	v_fma_f64 v[88:89], v[42:43], s[34:35], v[124:125]
	v_add_f64 v[4:5], v[32:33], v[14:15]
	v_add_f64 v[12:13], v[142:143], v[28:29]
	;; [unrolled: 1-line block ×5, first 2 shown]
	s_mul_i32 s0, s4, 0x750
	v_add_f64 v[22:23], v[114:115], v[46:47]
	v_add_f64 v[54:55], v[86:87], v[0:1]
	scratch_load_b64 v[0:1], off, off       ; 8-byte Folded Reload
	v_add_f64 v[46:47], v[148:149], v[18:19]
	v_add_f64 v[28:29], v[78:79], v[56:57]
	;; [unrolled: 1-line block ×10, first 2 shown]
	v_mad_u64_u32 v[58:59], null, s4, v200, 0
	v_add_f64 v[24:25], v[164:165], v[48:49]
	v_add_f64 v[48:49], v[80:81], v[34:35]
	;; [unrolled: 1-line block ×7, first 2 shown]
	ds_store_b128 v255, v[12:15] offset:3744
	ds_store_b128 v255, v[20:23] offset:5616
	;; [unrolled: 1-line block ×11, first 2 shown]
	ds_store_b128 v255, v[52:55]
	ds_store_b128 v255, v[4:7] offset:1872
	s_waitcnt vmcnt(0) lgkmcnt(0)
	s_barrier
	buffer_gl0_inv
	ds_load_b128 v[8:11], v255 offset:3744
	v_mov_b32_e32 v1, v59
	ds_load_b128 v[4:7], v255 offset:1872
	v_mov_b32_e32 v60, v0
	s_delay_alu instid0(VALU_DEP_1) | instskip(NEXT) | instid1(VALU_DEP_1)
	v_mad_u64_u32 v[56:57], null, s6, v60, 0
	v_mov_b32_e32 v0, v57
	s_delay_alu instid0(VALU_DEP_1) | instskip(NEXT) | instid1(VALU_DEP_1)
	v_mad_u64_u32 v[2:3], null, s7, v60, v[0:1]
	v_mov_b32_e32 v57, v2
	v_mad_u64_u32 v[59:60], null, s5, v200, v[1:2]
	ds_load_b128 v[0:3], v255
	ds_load_b128 v[12:15], v255 offset:5616
	ds_load_b128 v[16:19], v255 offset:7488
	;; [unrolled: 1-line block ×4, first 2 shown]
	v_lshlrev_b64 v[28:29], 4, v[56:57]
	s_mul_hi_u32 s5, s4, 0x750
	s_delay_alu instid0(SALU_CYCLE_1) | instskip(SKIP_1) | instid1(VALU_DEP_2)
	s_add_i32 s1, s5, s1
	v_lshlrev_b64 v[52:53], 4, v[58:59]
	v_add_co_u32 v82, vcc_lo, s2, v28
	s_delay_alu instid0(VALU_DEP_3)
	v_add_co_ci_u32_e32 v83, vcc_lo, s3, v29, vcc_lo
	ds_load_b128 v[28:31], v255 offset:13104
	ds_load_b128 v[32:35], v255 offset:14976
	;; [unrolled: 1-line block ×6, first 2 shown]
	s_clause 0x1
	scratch_load_b128 v[114:117], off, off offset:24
	scratch_load_b128 v[110:113], off, off offset:8
	v_add_co_u32 v52, vcc_lo, v82, v52
	v_add_co_ci_u32_e32 v53, vcc_lo, v83, v53, vcc_lo
	s_mov_b32 s2, 0x509ee28c
	s_delay_alu instid0(VALU_DEP_2) | instskip(NEXT) | instid1(VALU_DEP_2)
	v_add_co_u32 v106, vcc_lo, v52, s0
	v_add_co_ci_u32_e32 v107, vcc_lo, s1, v53, vcc_lo
	s_mov_b32 s3, 0x3f458b31
	s_delay_alu instid0(VALU_DEP_2) | instskip(NEXT) | instid1(VALU_DEP_2)
	v_add_co_u32 v108, vcc_lo, v106, s0
	v_add_co_ci_u32_e32 v109, vcc_lo, s1, v107, vcc_lo
	s_waitcnt vmcnt(1) lgkmcnt(10)
	v_mul_f64 v[54:55], v[116:117], v[2:3]
	v_mul_f64 v[56:57], v[116:117], v[0:1]
	scratch_load_b128 v[116:119], off, off offset:40 ; 16-byte Folded Reload
	s_waitcnt vmcnt(1)
	v_mul_f64 v[58:59], v[112:113], v[6:7]
	v_mul_f64 v[60:61], v[112:113], v[4:5]
	v_fma_f64 v[0:1], v[114:115], v[0:1], v[54:55]
	v_fma_f64 v[2:3], v[114:115], v[2:3], -v[56:57]
	v_add_co_u32 v54, vcc_lo, v108, s0
	v_fma_f64 v[4:5], v[110:111], v[4:5], v[58:59]
	v_fma_f64 v[6:7], v[110:111], v[6:7], -v[60:61]
	v_add_co_ci_u32_e32 v55, vcc_lo, s1, v109, vcc_lo
	s_delay_alu instid0(VALU_DEP_4) | instskip(NEXT) | instid1(VALU_DEP_2)
	v_add_co_u32 v56, vcc_lo, v54, s0
	v_add_co_ci_u32_e32 v57, vcc_lo, s1, v55, vcc_lo
	s_delay_alu instid0(VALU_DEP_2) | instskip(NEXT) | instid1(VALU_DEP_2)
	v_add_co_u32 v58, vcc_lo, v56, s0
	v_add_co_ci_u32_e32 v59, vcc_lo, s1, v57, vcc_lo
	s_delay_alu instid0(VALU_DEP_2) | instskip(NEXT) | instid1(VALU_DEP_2)
	v_add_co_u32 v60, vcc_lo, v58, s0
	v_add_co_ci_u32_e32 v61, vcc_lo, s1, v59, vcc_lo
	v_mul_f64 v[0:1], v[0:1], s[2:3]
	v_mul_f64 v[2:3], v[2:3], s[2:3]
	;; [unrolled: 1-line block ×4, first 2 shown]
	s_waitcnt vmcnt(0)
	v_mul_f64 v[62:63], v[118:119], v[10:11]
	v_mul_f64 v[64:65], v[118:119], v[8:9]
	scratch_load_b128 v[118:121], off, off offset:56 ; 16-byte Folded Reload
	v_fma_f64 v[8:9], v[116:117], v[8:9], v[62:63]
	v_fma_f64 v[10:11], v[116:117], v[10:11], -v[64:65]
	v_add_co_u32 v62, vcc_lo, v60, s0
	v_add_co_ci_u32_e32 v63, vcc_lo, s1, v61, vcc_lo
	s_delay_alu instid0(VALU_DEP_2) | instskip(NEXT) | instid1(VALU_DEP_2)
	v_add_co_u32 v64, vcc_lo, v62, s0
	v_add_co_ci_u32_e32 v65, vcc_lo, s1, v63, vcc_lo
	v_mul_f64 v[8:9], v[8:9], s[2:3]
	v_mul_f64 v[10:11], v[10:11], s[2:3]
	s_waitcnt vmcnt(0) lgkmcnt(9)
	v_mul_f64 v[66:67], v[120:121], v[14:15]
	v_mul_f64 v[68:69], v[120:121], v[12:13]
	scratch_load_b128 v[120:123], off, off offset:72 ; 16-byte Folded Reload
	v_fma_f64 v[12:13], v[118:119], v[12:13], v[66:67]
	v_fma_f64 v[14:15], v[118:119], v[14:15], -v[68:69]
	v_add_co_u32 v66, vcc_lo, v64, s0
	v_add_co_ci_u32_e32 v67, vcc_lo, s1, v65, vcc_lo
	s_delay_alu instid0(VALU_DEP_4) | instskip(NEXT) | instid1(VALU_DEP_4)
	v_mul_f64 v[12:13], v[12:13], s[2:3]
	v_mul_f64 v[14:15], v[14:15], s[2:3]
	s_waitcnt vmcnt(0) lgkmcnt(8)
	v_mul_f64 v[70:71], v[122:123], v[18:19]
	v_mul_f64 v[72:73], v[122:123], v[16:17]
	scratch_load_b128 v[122:125], off, off offset:88 ; 16-byte Folded Reload
	v_fma_f64 v[16:17], v[120:121], v[16:17], v[70:71]
	v_fma_f64 v[18:19], v[120:121], v[18:19], -v[72:73]
	s_delay_alu instid0(VALU_DEP_2) | instskip(NEXT) | instid1(VALU_DEP_2)
	v_mul_f64 v[16:17], v[16:17], s[2:3]
	v_mul_f64 v[18:19], v[18:19], s[2:3]
	s_waitcnt vmcnt(0) lgkmcnt(7)
	v_mul_f64 v[74:75], v[124:125], v[22:23]
	v_mul_f64 v[76:77], v[124:125], v[20:21]
	scratch_load_b128 v[124:127], off, off offset:104 ; 16-byte Folded Reload
	v_fma_f64 v[20:21], v[122:123], v[20:21], v[74:75]
	v_fma_f64 v[22:23], v[122:123], v[22:23], -v[76:77]
	s_delay_alu instid0(VALU_DEP_2) | instskip(NEXT) | instid1(VALU_DEP_2)
	;; [unrolled: 9-line block ×7, first 2 shown]
	v_mul_f64 v[40:41], v[40:41], s[2:3]
	v_mul_f64 v[42:43], v[42:43], s[2:3]
	s_waitcnt vmcnt(0) lgkmcnt(1)
	v_mul_f64 v[98:99], v[136:137], v[46:47]
	v_mul_f64 v[100:101], v[136:137], v[44:45]
	scratch_load_b128 v[136:139], off, off offset:200 ; 16-byte Folded Reload
	s_clause 0x4
	global_store_b128 v[52:53], v[0:3], off
	global_store_b128 v[106:107], v[4:7], off
	;; [unrolled: 1-line block ×6, first 2 shown]
	v_add_co_u32 v0, vcc_lo, v66, s0
	v_add_co_ci_u32_e32 v1, vcc_lo, s1, v67, vcc_lo
	global_store_b128 v[60:61], v[24:27], off
	v_add_co_u32 v2, vcc_lo, v0, s0
	v_add_co_ci_u32_e32 v3, vcc_lo, s1, v1, vcc_lo
	global_store_b128 v[62:63], v[28:31], off
	v_add_co_u32 v4, vcc_lo, v2, s0
	v_add_co_ci_u32_e32 v5, vcc_lo, s1, v3, vcc_lo
	v_fma_f64 v[44:45], v[134:135], v[44:45], v[98:99]
	v_fma_f64 v[46:47], v[134:135], v[46:47], -v[100:101]
	s_delay_alu instid0(VALU_DEP_2) | instskip(NEXT) | instid1(VALU_DEP_2)
	v_mul_f64 v[44:45], v[44:45], s[2:3]
	v_mul_f64 v[46:47], v[46:47], s[2:3]
	s_waitcnt vmcnt(0) lgkmcnt(0)
	v_mul_f64 v[102:103], v[138:139], v[50:51]
	v_mul_f64 v[104:105], v[138:139], v[48:49]
	s_delay_alu instid0(VALU_DEP_2) | instskip(NEXT) | instid1(VALU_DEP_2)
	v_fma_f64 v[48:49], v[136:137], v[48:49], v[102:103]
	v_fma_f64 v[50:51], v[136:137], v[50:51], -v[104:105]
	s_delay_alu instid0(VALU_DEP_2) | instskip(NEXT) | instid1(VALU_DEP_2)
	v_mul_f64 v[48:49], v[48:49], s[2:3]
	v_mul_f64 v[50:51], v[50:51], s[2:3]
	global_store_b128 v[64:65], v[32:35], off
	global_store_b128 v[66:67], v[36:39], off
	;; [unrolled: 1-line block ×5, first 2 shown]
.LBB0_18:
	s_nop 0
	s_sendmsg sendmsg(MSG_DEALLOC_VGPRS)
	s_endpgm
	.section	.rodata,"a",@progbits
	.p2align	6, 0x0
	.amdhsa_kernel bluestein_single_back_len1521_dim1_dp_op_CI_CI
		.amdhsa_group_segment_fixed_size 24336
		.amdhsa_private_segment_fixed_size 460
		.amdhsa_kernarg_size 104
		.amdhsa_user_sgpr_count 15
		.amdhsa_user_sgpr_dispatch_ptr 0
		.amdhsa_user_sgpr_queue_ptr 0
		.amdhsa_user_sgpr_kernarg_segment_ptr 1
		.amdhsa_user_sgpr_dispatch_id 0
		.amdhsa_user_sgpr_private_segment_size 0
		.amdhsa_wavefront_size32 1
		.amdhsa_uses_dynamic_stack 0
		.amdhsa_enable_private_segment 1
		.amdhsa_system_sgpr_workgroup_id_x 1
		.amdhsa_system_sgpr_workgroup_id_y 0
		.amdhsa_system_sgpr_workgroup_id_z 0
		.amdhsa_system_sgpr_workgroup_info 0
		.amdhsa_system_vgpr_workitem_id 0
		.amdhsa_next_free_vgpr 256
		.amdhsa_next_free_sgpr 46
		.amdhsa_reserve_vcc 1
		.amdhsa_float_round_mode_32 0
		.amdhsa_float_round_mode_16_64 0
		.amdhsa_float_denorm_mode_32 3
		.amdhsa_float_denorm_mode_16_64 3
		.amdhsa_dx10_clamp 1
		.amdhsa_ieee_mode 1
		.amdhsa_fp16_overflow 0
		.amdhsa_workgroup_processor_mode 1
		.amdhsa_memory_ordered 1
		.amdhsa_forward_progress 0
		.amdhsa_shared_vgpr_count 0
		.amdhsa_exception_fp_ieee_invalid_op 0
		.amdhsa_exception_fp_denorm_src 0
		.amdhsa_exception_fp_ieee_div_zero 0
		.amdhsa_exception_fp_ieee_overflow 0
		.amdhsa_exception_fp_ieee_underflow 0
		.amdhsa_exception_fp_ieee_inexact 0
		.amdhsa_exception_int_div_zero 0
	.end_amdhsa_kernel
	.text
.Lfunc_end0:
	.size	bluestein_single_back_len1521_dim1_dp_op_CI_CI, .Lfunc_end0-bluestein_single_back_len1521_dim1_dp_op_CI_CI
                                        ; -- End function
	.section	.AMDGPU.csdata,"",@progbits
; Kernel info:
; codeLenInByte = 27796
; NumSgprs: 48
; NumVgprs: 256
; ScratchSize: 460
; MemoryBound: 0
; FloatMode: 240
; IeeeMode: 1
; LDSByteSize: 24336 bytes/workgroup (compile time only)
; SGPRBlocks: 5
; VGPRBlocks: 31
; NumSGPRsForWavesPerEU: 48
; NumVGPRsForWavesPerEU: 256
; Occupancy: 5
; WaveLimiterHint : 1
; COMPUTE_PGM_RSRC2:SCRATCH_EN: 1
; COMPUTE_PGM_RSRC2:USER_SGPR: 15
; COMPUTE_PGM_RSRC2:TRAP_HANDLER: 0
; COMPUTE_PGM_RSRC2:TGID_X_EN: 1
; COMPUTE_PGM_RSRC2:TGID_Y_EN: 0
; COMPUTE_PGM_RSRC2:TGID_Z_EN: 0
; COMPUTE_PGM_RSRC2:TIDIG_COMP_CNT: 0
	.text
	.p2alignl 7, 3214868480
	.fill 96, 4, 3214868480
	.type	__hip_cuid_742d261a5d418e69,@object ; @__hip_cuid_742d261a5d418e69
	.section	.bss,"aw",@nobits
	.globl	__hip_cuid_742d261a5d418e69
__hip_cuid_742d261a5d418e69:
	.byte	0                               ; 0x0
	.size	__hip_cuid_742d261a5d418e69, 1

	.ident	"AMD clang version 19.0.0git (https://github.com/RadeonOpenCompute/llvm-project roc-6.4.0 25133 c7fe45cf4b819c5991fe208aaa96edf142730f1d)"
	.section	".note.GNU-stack","",@progbits
	.addrsig
	.addrsig_sym __hip_cuid_742d261a5d418e69
	.amdgpu_metadata
---
amdhsa.kernels:
  - .args:
      - .actual_access:  read_only
        .address_space:  global
        .offset:         0
        .size:           8
        .value_kind:     global_buffer
      - .actual_access:  read_only
        .address_space:  global
        .offset:         8
        .size:           8
        .value_kind:     global_buffer
      - .actual_access:  read_only
        .address_space:  global
        .offset:         16
        .size:           8
        .value_kind:     global_buffer
      - .actual_access:  read_only
        .address_space:  global
        .offset:         24
        .size:           8
        .value_kind:     global_buffer
      - .actual_access:  read_only
        .address_space:  global
        .offset:         32
        .size:           8
        .value_kind:     global_buffer
      - .offset:         40
        .size:           8
        .value_kind:     by_value
      - .address_space:  global
        .offset:         48
        .size:           8
        .value_kind:     global_buffer
      - .address_space:  global
        .offset:         56
        .size:           8
        .value_kind:     global_buffer
      - .address_space:  global
        .offset:         64
        .size:           8
        .value_kind:     global_buffer
      - .address_space:  global
        .offset:         72
        .size:           8
        .value_kind:     global_buffer
      - .offset:         80
        .size:           4
        .value_kind:     by_value
      - .address_space:  global
        .offset:         88
        .size:           8
        .value_kind:     global_buffer
      - .address_space:  global
        .offset:         96
        .size:           8
        .value_kind:     global_buffer
    .group_segment_fixed_size: 24336
    .kernarg_segment_align: 8
    .kernarg_segment_size: 104
    .language:       OpenCL C
    .language_version:
      - 2
      - 0
    .max_flat_workgroup_size: 117
    .name:           bluestein_single_back_len1521_dim1_dp_op_CI_CI
    .private_segment_fixed_size: 460
    .sgpr_count:     48
    .sgpr_spill_count: 0
    .symbol:         bluestein_single_back_len1521_dim1_dp_op_CI_CI.kd
    .uniform_work_group_size: 1
    .uses_dynamic_stack: false
    .vgpr_count:     256
    .vgpr_spill_count: 114
    .wavefront_size: 32
    .workgroup_processor_mode: 1
amdhsa.target:   amdgcn-amd-amdhsa--gfx1100
amdhsa.version:
  - 1
  - 2
...

	.end_amdgpu_metadata
